;; amdgpu-corpus repo=ROCm/aiter kind=harvested arch=n/a opt=n/a

/root/src/amdgpu-assembly/repos/ROCm__aiter/hsa/gfx950/pa/pa_fp16_pertokenInt8_gqa16_1tg_4w_mtp_msk0.co:	file format elf64-amdgpu

Disassembly of section .text:

0000000000002200 <_ZN5aiter42pa_fp16_pertokenInt8_gqa16_1tg_4w_mtp_msk0E>:
	s_and_b32 s1, s1, 0xffff                                   // 000000002200: 8601FF01 0000FFFF
	s_load_dwordx2 s[8:9], s[0:1], 0x0                         // 000000002208: C0060200 00000000
	s_load_dwordx2 s[12:13], s[0:1], 0x10                      // 000000002210: C0060300 00000010
	s_load_dwordx2 s[16:17], s[0:1], 0x20                      // 000000002218: C0060400 00000020
	s_load_dwordx2 s[20:21], s[0:1], 0x30                      // 000000002220: C0060500 00000030
	s_load_dwordx2 s[24:25], s[0:1], 0x40                      // 000000002228: C0060600 00000040
	s_load_dwordx2 s[28:29], s[0:1], 0x50                      // 000000002230: C0060700 00000050
	s_load_dwordx2 s[32:33], s[0:1], 0x60                      // 000000002238: C0060800 00000060
	s_load_dwordx2 s[36:37], s[0:1], 0x70                      // 000000002240: C0060900 00000070
	s_load_dword s64, s[0:1], 0x80                             // 000000002248: C0021000 00000080
	s_load_dword s65, s[0:1], 0x90                             // 000000002250: C0021040 00000090
	s_load_dword s66, s[0:1], 0xa0                             // 000000002258: C0021080 000000A0
	s_load_dword s74, s[0:1], 0xb0                             // 000000002260: C0021280 000000B0
	s_load_dword s68, s[0:1], 0xc0                             // 000000002268: C0021100 000000C0
	s_load_dword s69, s[0:1], 0xd0                             // 000000002270: C0021140 000000D0
	s_load_dword s77, s[0:1], 0xe0                             // 000000002278: C0021340 000000E0
	s_load_dwordx2 s[80:81], s[0:1], 0xf0                      // 000000002280: C0061400 000000F0
	v_lshrrev_b32_e32 v1, 10, v0                               // 000000002288: 2002008A
	v_lshrrev_b32_e32 v2, 10, v1                               // 00000000228C: 2004028A
	v_and_b32_e32 v2, 0x3ff, v2                                // 000000002290: 260404FF 000003FF
	v_and_b32_e32 v1, 0x3ff, v1                                // 000000002298: 260202FF 000003FF
	v_and_b32_e32 v0, 0x3ff, v0                                // 0000000022A0: 260000FF 000003FF
	v_lshrrev_b32_e32 v3, 6, v0                                // 0000000022A8: 20060086
	v_and_b32_e32 v0, 63, v0                                   // 0000000022AC: 260000BF
	s_mov_b32 s2, s2                                           // 0000000022B0: BE820002
	s_mov_b32 s3, s3                                           // 0000000022B4: BE830003
	s_mov_b32 s4, s4                                           // 0000000022B8: BE840004
	v_readfirstlane_b32 s7, v3                                 // 0000000022BC: 7E0E0503
	s_waitcnt lgkmcnt(0)                                       // 0000000022C0: BF8CC07F
	s_mul_i32 s67, 0x100, s77                                  // 0000000022C4: 92434DFF 00000100
	s_mul_i32 s76, 0x100, s77                                  // 0000000022CC: 924C4DFF 00000100
	s_mul_i32 s75, s66, s76                                    // 0000000022D4: 924B4C42
	s_mul_i32 s60, s3, 4                                       // 0000000022D8: 923C8403
	s_and_b32 s29, s29, 0xffff                                 // 0000000022DC: 861DFF1D 0000FFFF
	s_add_u32 s28, s60, s28                                    // 0000000022E4: 801C1C3C
	s_addc_u32 s29, 0, s29                                     // 0000000022E8: 821D1D80
	s_load_dword s72, s[28:29], 0x0                            // 0000000022EC: C002120E 00000000
	s_mul_i32 s60, s3, 4                                       // 0000000022F4: 923C8403
	s_and_b32 s81, s81, 0xffff                                 // 0000000022F8: 8651FF51 0000FFFF
	s_add_u32 s80, s60, s80                                    // 000000002300: 8050503C
	s_addc_u32 s81, 0, s81                                     // 000000002304: 82515180
	s_load_dword s84, s[80:81], 0x0                            // 000000002308: C0021528 00000000
	s_load_dword s85, s[80:81], 0x4                            // 000000002310: C0021568 00000004
	s_mov_b32 s10, s76                                         // 000000002318: BE8A004C
	s_mov_b32 s14, s67                                         // 00000000231C: BE8E0043
	s_mul_i32 s60, 4, s65                                      // 000000002320: 923C4184
	s_mov_b32 s26, s60                                         // 000000002324: BE9A003C
	s_mov_b32 s34, 0x80000000                                  // 000000002328: BEA200FF 80000000
	s_mov_b32 s38, 0x80000000                                  // 000000002330: BEA600FF 80000000
	s_mov_b32 s18, 0x80000000                                  // 000000002338: BE9200FF 80000000
	s_mov_b32 s22, 0x80000000                                  // 000000002340: BE9600FF 80000000
	s_mov_b32 s11, 0x20000                                     // 000000002348: BE8B00FF 00020000
	s_mov_b32 s15, 0x20000                                     // 000000002350: BE8F00FF 00020000
	s_mov_b32 s19, 0x20000                                     // 000000002358: BE9300FF 00020000
	s_mov_b32 s23, 0x20000                                     // 000000002360: BE9700FF 00020000
	s_mov_b32 s27, 0x20000                                     // 000000002368: BE9B00FF 00020000
	s_mov_b32 s35, 0x20000                                     // 000000002370: BEA300FF 00020000
	s_mov_b32 s39, 0x20000                                     // 000000002378: BEA700FF 00020000
	s_and_b32 s9, s9, 0xffff                                   // 000000002380: 8609FF09 0000FFFF
	s_and_b32 s13, s13, 0xffff                                 // 000000002388: 860DFF0D 0000FFFF
	s_and_b32 s17, s17, 0xffff                                 // 000000002390: 8611FF11 0000FFFF
	s_and_b32 s21, s21, 0xffff                                 // 000000002398: 8615FF15 0000FFFF
	s_and_b32 s25, s25, 0xffff                                 // 0000000023A0: 8619FF19 0000FFFF
	s_and_b32 s33, s33, 0xffff                                 // 0000000023A8: 8621FF21 0000FFFF
	s_and_b32 s37, s37, 0xffff                                 // 0000000023B0: 8625FF25 0000FFFF
	s_or_b32 s9, s9, 0x40000                                   // 0000000023B8: 8709FF09 00040000
	s_or_b32 s13, s13, 0x40000                                 // 0000000023C0: 870DFF0D 00040000
	s_or_b32 s17, s17, 0x40000                                 // 0000000023C8: 8711FF11 00040000
	s_or_b32 s21, s21, 0x40000                                 // 0000000023D0: 8715FF15 00040000
	s_or_b32 s25, s25, 0x40000                                 // 0000000023D8: 8719FF19 00040000
	s_or_b32 s33, s33, 0x40000                                 // 0000000023E0: 8721FF21 00040000
	s_or_b32 s37, s37, 0x40000                                 // 0000000023E8: 8725FF25 00040000
	v_accvgpr_write_b32 a127, 0                                // 0000000023F0: D3D9407F 18000080
	v_mov_b32_e32 v255, 0                                      // 0000000023F8: 7FFE0280
	s_waitcnt lgkmcnt(0)                                       // 0000000023FC: BF8CC07F
	s_sub_u32 s86, s85, s84                                    // 000000002400: 80D65455
	s_mov_b32 s60, 2                                           // 000000002404: BEBC0082
	s_cmp_eq_i32 s60, s86                                      // 000000002408: BF00563C
	s_cbranch_scc1 label_1219                                  // 00000000240C: BF851195
	s_mov_b32 s60, 3                                           // 000000002410: BEBC0083
	s_cmp_eq_i32 s60, s86                                      // 000000002414: BF00563C
	s_cbranch_scc1 label_3294                                  // 000000002418: BF85320D
	s_mov_b32 s60, 4                                           // 00000000241C: BEBC0084
	s_cmp_eq_i32 s60, s86                                      // 000000002420: BF00563C
	s_cbranch_scc1 label_6229                                  // 000000002424: BF85619F
	s_mul_i32 s60, s3, s65                                     // 000000002428: 923C4103
	s_mul_i32 s60, s60, 4                                      // 00000000242C: 923C843C
	s_add_u32 s24, s60, s24                                    // 000000002430: 8018183C
	s_addc_u32 s25, 0, s25                                     // 000000002434: 82191980
	s_mov_b32 s56, 64                                          // 000000002438: BEB800C0
	s_add_u32 s73, s72, 15                                     // 00000000243C: 80498F48
	s_lshr_b32 s73, s73, 4                                     // 000000002440: 8F498449
	s_mul_i32 s60, s73, 4                                      // 000000002444: 923C8449
	s_mov_b32 s26, s60                                         // 000000002448: BE9A003C
	v_and_b32_e32 v65, 3, v0                                   // 00000000244C: 26820083
	v_cmp_eq_u32_e64 s[60:61], 0, v65                          // 000000002450: D0CA003C 00028280
	v_and_b32_e32 v64, 12, v0                                  // 000000002458: 2680008C
	v_add_u32_e32 v1, s7, v64                                  // 00000000245C: 68028007
	v_cndmask_b32_e64 v1, 0, v1, s[60:61]                      // 000000002460: D1000001 00F20280
	v_and_b32_e32 v65, 3, v0                                   // 000000002468: 26820083
	v_cmp_eq_u32_e64 s[60:61], 1, v65                          // 00000000246C: D0CA003C 00028281
	v_lshrrev_b32_e32 v64, 4, v0                               // 000000002474: 20800084
	v_and_b32_e32 v65, 12, v0                                  // 000000002478: 2682008C
	v_add_u32_e32 v64, v65, v64                                // 00000000247C: 68808141
	v_cndmask_b32_e64 v64, 0, v64, s[60:61]                    // 000000002480: D1000040 00F28080
	v_add_u32_e32 v1, v1, v64                                  // 000000002488: 68028101
	v_lshlrev_b32_e32 v1, 2, v1                                // 00000000248C: 24020282
	buffer_load_dword v16, v1, s[24:27], 0 offen               // 000000002490: E0501000 80061001
	v_add_u32_e32 v1, s56, v1                                  // 000000002498: 68020238
	buffer_load_dword v17, v1, s[24:27], 0 offen               // 00000000249C: E0501000 80061101
	s_cmp_le_u32 s73, 32                                       // 0000000024A4: BF0BA049
	s_cselect_b32 s56, 0, s56                                  // 0000000024A8: 85383880
	s_mul_i32 s60, s2, s67                                     // 0000000024AC: 923C4302
	s_mul_i32 s61, s84, s74                                    // 0000000024B0: 923D4A54
	s_add_u32 s60, s60, s61                                    // 0000000024B4: 803C3D3C
	s_add_u32 s12, s60, s12                                    // 0000000024B8: 800C0C3C
	s_addc_u32 s13, 0, s13                                     // 0000000024BC: 820D0D80
	s_mul_i32 s60, s7, 0x108                                   // 0000000024C0: 923CFF07 00000108
	s_add_u32 m0, 0, s60                                       // 0000000024C8: 807C3C80
	s_mul_i32 s60, s7, 0x100                                   // 0000000024CC: 923CFF07 00000100
	v_lshlrev_b32_e32 v64, 2, v0                               // 0000000024D4: 24800082
	v_add_u32_e64 v64, v64, s60                                // 0000000024D8: D1340040 00007940
	buffer_load_dword v64, s[12:15], 0 offen lds               // 0000000024E0: E0511000 80030040
	s_mul_i32 s60, 4, 0x108                                    // 0000000024E8: 923CFF84 00000108
	s_add_u32 m0, m0, s60                                      // 0000000024F0: 807C3C7C
	v_add_u32_e32 v64, 0x400, v64                              // 0000000024F4: 688080FF 00000400
	buffer_load_dword v64, s[12:15], 0 offen lds               // 0000000024FC: E0511000 80030040
	s_mul_i32 s60, 4, 0x108                                    // 000000002504: 923CFF84 00000108
	s_add_u32 m0, m0, s60                                      // 00000000250C: 807C3C7C
	v_add_u32_e32 v64, 0x400, v64                              // 000000002510: 688080FF 00000400
	buffer_load_dword v64, s[12:15], 0 offen lds               // 000000002518: E0511000 80030040
	s_mul_i32 s60, 4, 0x108                                    // 000000002520: 923CFF84 00000108
	s_add_u32 m0, m0, s60                                      // 000000002528: 807C3C7C
	v_add_u32_e32 v64, 0x400, v64                              // 00000000252C: 688080FF 00000400
	buffer_load_dword v64, s[12:15], 0 offen lds               // 000000002534: E0511000 80030040
	s_mul_i32 s60, 4, 0x108                                    // 00000000253C: 923CFF84 00000108
	s_add_u32 m0, m0, s60                                      // 000000002544: 807C3C7C
	v_add_u32_e32 v64, 0x400, v64                              // 000000002548: 688080FF 00000400
	v_lshrrev_b32_e32 v64, 4, v0                               // 000000002550: 20800084
	v_lshlrev_b32_e32 v64, 2, v64                              // 000000002554: 24808082
	v_and_b32_e32 v65, 3, v0                                   // 000000002558: 26820083
	v_add_u32_e32 v64, v65, v64                                // 00000000255C: 68808141
	v_lshlrev_b32_e32 v59, 2, v64                              // 000000002560: 24768082
	v_mov_b32_e32 v60, v59                                     // 000000002564: 7E78033B
	s_mul_i32 s60, s2, 64                                      // 000000002568: 923CC002
	s_add_u32 s32, s60, s32                                    // 00000000256C: 8020203C
	s_addc_u32 s33, 0, s33                                     // 000000002570: 82212180
	s_add_u32 s36, s60, s36                                    // 000000002574: 8024243C
	s_addc_u32 s37, 0, s37                                     // 000000002578: 82252580
	s_mul_i32 s60, s2, s76                                     // 00000000257C: 923C4C02
	s_mul_i32 s61, s84, s75                                    // 000000002580: 923D4B54
	s_add_u32 s60, s60, s61                                    // 000000002584: 803C3D3C
	s_add_u32 s8, s60, s8                                      // 000000002588: 8008083C
	s_addc_u32 s9, 0, s9                                       // 00000000258C: 82090980
	s_mov_b32 s70, 0                                           // 000000002590: BEC60080
	s_and_b32 s71, s72, 0xffffff00                             // 000000002594: 8647FF48 FFFFFF00
	s_mov_b32 s42, 0xff00ff00                                  // 00000000259C: BEAA00FF FF00FF00
	s_mov_b32 s43, 0xff00ff00                                  // 0000000025A4: BEAB00FF FF00FF00
	s_mov_b32 s44, 0xf0f0f0f0                                  // 0000000025AC: BEAC00FF F0F0F0F0
	s_mov_b32 s45, 0xf0f0f0f0                                  // 0000000025B4: BEAD00FF F0F0F0F0
	s_mov_b32 s78, 0xff00ff                                    // 0000000025BC: BECE00FF 00FF00FF
	s_mov_b32 s79, 0xff00ff                                    // 0000000025C4: BECF00FF 00FF00FF
	v_mul_i32_i24_e64 v63, 64, s66                             // 0000000025CC: D106003F 000084C0
	v_mov_b32_e32 v54, s68                                     // 0000000025D4: 7E6C0244
	s_mov_b32 s52, 0x7060302                                   // 0000000025D8: BEB400FF 07060302
	s_mov_b32 s53, 0x400                                       // 0000000025E0: BEB500FF 00000400
	s_mov_b32 s54, 0x40100                                     // 0000000025E8: BEB600FF 00040100
	s_mov_b32 s55, 0x4020100                                   // 0000000025F0: BEB700FF 04020100
	s_mov_b32 s6, 0x3fb8aa3b                                   // 0000000025F8: BE8600FF 3FB8AA3B
	v_mov_b32_e32 v11, 0xff800000                              // 000000002600: 7E1602FF FF800000
	v_mov_b32_e32 v49, 0                                       // 000000002608: 7E620280
	v_mov_b32_e32 v38, 0                                       // 00000000260C: 7E4C0280
	v_mov_b32_e32 v44, 0                                       // 000000002610: 7E580280
	v_add_u32_e32 v1, s56, v1                                  // 000000002614: 68020238
	v_and_b32_e32 v7, 15, v0                                   // 000000002618: 260E008F
	v_lshlrev_b32_e32 v7, 2, v7                                // 00000000261C: 240E0E82
	v_lshlrev_b32_e32 v8, 2, v0                                // 000000002620: 24100082
	s_mul_i32 s60, 0x100, s7                                   // 000000002624: 923C07FF 00000100
	v_add_u32_e32 v8, s60, v8                                  // 00000000262C: 6810103C
	v_lshrrev_b32_e32 v64, 4, v0                               // 000000002630: 20800084
	v_lshlrev_b32_e32 v65, 6, v64                              // 000000002634: 24828086
	v_and_b32_e32 v64, 15, v0                                  // 000000002638: 2680008F
	v_lshlrev_b32_e32 v64, 1, v64                              // 00000000263C: 24808081
	v_add_u32_e32 v65, v64, v65                                // 000000002640: 68828340
	v_lshlrev_b32_e32 v9, 2, v65                               // 000000002644: 24128282
	v_lshrrev_b32_e32 v64, 5, v0                               // 000000002648: 20800085
	v_lshlrev_b32_e32 v65, 5, v64                              // 00000000264C: 24828085
	v_and_b32_e32 v64, 31, v0                                  // 000000002650: 2680009F
	v_lshrrev_b32_e32 v66, 4, v64                              // 000000002654: 20848084
	v_add_u32_e32 v65, v66, v65                                // 000000002658: 68828342
	v_and_b32_e32 v64, 15, v0                                  // 00000000265C: 2680008F
	v_lshlrev_b32_e32 v64, 1, v64                              // 000000002660: 24808081
	v_add_u32_e32 v65, v64, v65                                // 000000002664: 68828340
	v_lshlrev_b32_e32 v64, 2, v65                              // 000000002668: 24808282
	s_mul_i32 s60, 0x100, s7                                   // 00000000266C: 923C07FF 00000100
	v_add_u32_e64 v10, v64, s60                                // 000000002674: D134000A 00007940
	v_lshlrev_b32_e32 v5, 4, v0                                // 00000000267C: 240A0084
	s_mul_i32 s60, s2, s69                                     // 000000002680: 923C4502
	s_add_u32 s16, s60, s16                                    // 000000002684: 8010103C
	s_addc_u32 s17, 0, s17                                     // 000000002688: 82111180
	v_and_b32_e32 v64, 15, v0                                  // 00000000268C: 2680008F
	v_lshlrev_b32_e32 v6, 4, v64                               // 000000002690: 240C8084
	s_mul_i32 s61, s2, s69                                     // 000000002694: 923D4502
	s_mul_i32 s60, s7, 0x100                                   // 000000002698: 923CFF07 00000100
	s_add_u32 s60, s60, s61                                    // 0000000026A0: 803C3D3C
	s_add_u32 s20, s60, s20                                    // 0000000026A4: 8014143C
	s_addc_u32 s21, 0, s21                                     // 0000000026A8: 82151580
	s_waitcnt vmcnt(4)                                         // 0000000026AC: BF8C0F74
	v_mul_u32_u24_dpp v64, v16, v54 row_newbcast:0 row_mask:0xf bank_mask:0xf// 0000000026B0: 10806CFA FF015010
	v_mul_u32_u24_dpp v65, v16, v54 row_newbcast:4 row_mask:0xf bank_mask:0xf// 0000000026B8: 10826CFA FF015410
	v_mul_u32_u24_dpp v66, v16, v54 row_newbcast:8 row_mask:0xf bank_mask:0xf// 0000000026C0: 10846CFA FF015810
	v_mul_u32_u24_dpp v67, v16, v54 row_newbcast:12 row_mask:0xf bank_mask:0xf// 0000000026C8: 10866CFA FF015C10
	v_add_u32_e32 v22, v64, v5                                 // 0000000026D0: 682C0B40
	v_add_u32_e32 v23, v65, v5                                 // 0000000026D4: 682E0B41
	v_add_u32_e32 v24, v66, v5                                 // 0000000026D8: 68300B42
	v_add_u32_e32 v25, v67, v5                                 // 0000000026DC: 68320B43
	v_mul_u32_u24_dpp v64, v16, v54 row_newbcast:1 row_mask:0xf bank_mask:0xf// 0000000026E0: 10806CFA FF015110
	v_mul_u32_u24_dpp v65, v16, v54 row_newbcast:5 row_mask:0xf bank_mask:0xf// 0000000026E8: 10826CFA FF015510
	v_mul_u32_u24_dpp v66, v16, v54 row_newbcast:9 row_mask:0xf bank_mask:0xf// 0000000026F0: 10846CFA FF015910
	v_mul_u32_u24_dpp v67, v16, v54 row_newbcast:13 row_mask:0xf bank_mask:0xf// 0000000026F8: 10866CFA FF015D10
	v_add_u32_e32 v30, v64, v6                                 // 000000002700: 683C0D40
	v_add_u32_e32 v31, v65, v6                                 // 000000002704: 683E0D41
	v_add_u32_e32 v32, v66, v6                                 // 000000002708: 68400D42
	v_add_u32_e32 v33, v67, v6                                 // 00000000270C: 68420D43
	v_mul_u32_u24_dpp v64, v16, v63 quad_perm:[0,0,0,0] row_mask:0xf bank_mask:0xf// 000000002710: 10807EFA FF000010
	v_add_u32_e32 v2, v64, v59                                 // 000000002718: 68047740
	v_mul_u32_u24_dpp v64, v16, v63 quad_perm:[0,0,0,0] row_mask:0xf bank_mask:0xf// 00000000271C: 10807EFA FF000010
	v_add_u32_e32 v55, v64, v60                                // 000000002724: 686E7940
	buffer_load_dword v42, v2, s[32:35], 0 offen               // 000000002728: E0501000 80082A02
	buffer_load_dwordx4 a[0:3], v22, s[16:19], 0 offen         // 000000002730: E05C1000 80840016
	buffer_load_dwordx4 a[4:7], v22, s[16:19], 0 offen offset:1024// 000000002738: E05C1400 80840416
	buffer_load_dwordx4 a[8:11], v23, s[16:19], 0 offen        // 000000002740: E05C1000 80840817
	buffer_load_dwordx4 a[12:15], v23, s[16:19], 0 offen offset:1024// 000000002748: E05C1400 80840C17
	buffer_load_dwordx4 a[16:19], v24, s[16:19], 0 offen       // 000000002750: E05C1000 80841018
	buffer_load_dwordx4 a[20:23], v24, s[16:19], 0 offen offset:1024// 000000002758: E05C1400 80841418
	buffer_load_dwordx4 a[24:27], v25, s[16:19], 0 offen       // 000000002760: E05C1000 80841819
	buffer_load_dwordx4 a[28:31], v25, s[16:19], 0 offen offset:1024// 000000002768: E05C1400 80841C19
	buffer_load_dword v57, v55, s[36:39], 0 offen              // 000000002770: E0501000 80093937
	buffer_load_dwordx4 a[64:67], v30, s[20:23], 0 offen       // 000000002778: E05C1000 8085401E
	buffer_load_dwordx4 a[68:71], v31, s[20:23], 0 offen       // 000000002780: E05C1000 8085441F
	buffer_load_dwordx4 a[72:75], v32, s[20:23], 0 offen       // 000000002788: E05C1000 80854820
	buffer_load_dwordx4 a[76:79], v33, s[20:23], 0 offen       // 000000002790: E05C1000 80854C21
	buffer_load_dwordx4 a[80:83], v30, s[20:23], 0 offen offset:1024// 000000002798: E05C1400 8085501E
	buffer_load_dwordx4 a[84:87], v31, s[20:23], 0 offen offset:1024// 0000000027A0: E05C1400 8085541F
	buffer_load_dwordx4 a[88:91], v32, s[20:23], 0 offen offset:1024// 0000000027A8: E05C1400 80855820
	buffer_load_dwordx4 a[92:95], v33, s[20:23], 0 offen offset:1024// 0000000027B0: E05C1400 80855C21
	v_lshrrev_b32_e32 v64, 4, v0                               // 0000000027B8: 20800084
	v_lshlrev_b32_e32 v65, 1, v64                              // 0000000027BC: 24828081
	v_and_b32_e32 v64, 15, v0                                  // 0000000027C0: 2680008F
	v_mul_i32_i24_e32 v64, 0x42, v64                           // 0000000027C4: 0C8080FF 00000042
	v_add_u32_e32 v65, v64, v65                                // 0000000027CC: 68828340
	v_lshlrev_b32_e32 v4, 2, v65                               // 0000000027D0: 24088282
	s_mul_i32 s60, s7, 32                                      // 0000000027D4: 923CA007
	v_add_u32_e32 v4, s60, v4                                  // 0000000027D8: 6808083C
	s_waitcnt vmcnt(16) lgkmcnt(0)                             // 0000000027DC: BF8C4070
	s_barrier                                                  // 0000000027E0: BF8A0000
	ds_read_b64 v[80:81], v4                                   // 0000000027E4: D8EC0000 50000004
	ds_read_b64 v[84:85], v4 offset:128                        // 0000000027EC: D8EC0080 54000004
	s_waitcnt lgkmcnt(0)                                       // 0000000027F4: BF8CC07F
	v_and_b32_e32 v64, 0xffff, v80                             // 0000000027F8: 2680A0FF 0000FFFF
	v_lshrrev_b32_e32 v65, 16, v80                             // 000000002800: 2082A090
	v_and_b32_e32 v66, 0xffff, v81                             // 000000002804: 2684A2FF 0000FFFF
	v_lshrrev_b32_e32 v67, 16, v81                             // 00000000280C: 2086A290
	v_cvt_f32_f16_e32 v80, v64                                 // 000000002810: 7EA01740
	v_cvt_f32_f16_e32 v81, v65                                 // 000000002814: 7EA21741
	v_cvt_f32_f16_e32 v82, v66                                 // 000000002818: 7EA41742
	v_cvt_f32_f16_e32 v83, v67                                 // 00000000281C: 7EA61743
	v_and_b32_e32 v64, 0xffff, v84                             // 000000002820: 2680A8FF 0000FFFF
	v_lshrrev_b32_e32 v65, 16, v84                             // 000000002828: 2082A890
	v_and_b32_e32 v66, 0xffff, v85                             // 00000000282C: 2684AAFF 0000FFFF
	v_lshrrev_b32_e32 v67, 16, v85                             // 000000002834: 2086AA90
	v_cvt_f32_f16_e32 v84, v64                                 // 000000002838: 7EA81740
	v_cvt_f32_f16_e32 v85, v65                                 // 00000000283C: 7EAA1741
	v_cvt_f32_f16_e32 v86, v66                                 // 000000002840: 7EAC1742
	v_cvt_f32_f16_e32 v87, v67                                 // 000000002844: 7EAE1743
	v_mov_b32_e32 v48, 0x358637bd                              // 000000002848: 7E6002FF 358637BD
	v_max3_f32 v48, |v80|, |v81|, v48                          // 000000002850: D1D30330 04C2A350
	v_max3_f32 v48, |v82|, |v83|, v48                          // 000000002858: D1D30330 04C2A752
	v_max3_f32 v48, |v84|, |v85|, v48                          // 000000002860: D1D30330 04C2AB54
	v_max3_f32 v48, |v86|, |v87|, v48                          // 000000002868: D1D30330 04C2AF56
	ds_write_b32 v8, v48 offset:16896                          // 000000002870: D81A4200 00003008
	s_waitcnt lgkmcnt(0)                                       // 000000002878: BF8CC07F
	s_barrier                                                  // 00000000287C: BF8A0000
	ds_read_b32 v64, v7 offset:16896                           // 000000002880: D86C4200 40000007
	ds_read_b32 v65, v7 offset:16960                           // 000000002888: D86C4240 41000007
	ds_read_b32 v66, v7 offset:17024                           // 000000002890: D86C4280 42000007
	ds_read_b32 v67, v7 offset:17088                           // 000000002898: D86C42C0 43000007
	ds_read_b32 v68, v7 offset:17152                           // 0000000028A0: D86C4300 44000007
	ds_read_b32 v69, v7 offset:17216                           // 0000000028A8: D86C4340 45000007
	ds_read_b32 v70, v7 offset:17280                           // 0000000028B0: D86C4380 46000007
	ds_read_b32 v71, v7 offset:17344                           // 0000000028B8: D86C43C0 47000007
	ds_read_b32 v72, v7 offset:17408                           // 0000000028C0: D86C4400 48000007
	ds_read_b32 v73, v7 offset:17472                           // 0000000028C8: D86C4440 49000007
	ds_read_b32 v74, v7 offset:17536                           // 0000000028D0: D86C4480 4A000007
	ds_read_b32 v75, v7 offset:17600                           // 0000000028D8: D86C44C0 4B000007
	ds_read_b32 v76, v7 offset:17664                           // 0000000028E0: D86C4500 4C000007
	ds_read_b32 v77, v7 offset:17728                           // 0000000028E8: D86C4540 4D000007
	ds_read_b32 v78, v7 offset:17792                           // 0000000028F0: D86C4580 4E000007
	ds_read_b32 v79, v7 offset:17856                           // 0000000028F8: D86C45C0 4F000007
	s_waitcnt lgkmcnt(0)                                       // 000000002900: BF8CC07F
	v_max3_f32 v48, |v64|, |v65|, v48                          // 000000002904: D1D30330 04C28340
	v_max3_f32 v48, |v66|, |v67|, v48                          // 00000000290C: D1D30330 04C28742
	v_max3_f32 v48, |v68|, |v69|, v48                          // 000000002914: D1D30330 04C28B44
	v_max3_f32 v48, |v70|, |v71|, v48                          // 00000000291C: D1D30330 04C28F46
	v_max3_f32 v48, |v72|, |v73|, v48                          // 000000002924: D1D30330 04C29348
	v_max3_f32 v48, |v74|, |v75|, v48                          // 00000000292C: D1D30330 04C2974A
	v_max3_f32 v48, |v76|, |v77|, v48                          // 000000002934: D1D30330 04C29B4C
	v_max3_f32 v48, |v78|, |v79|, v48                          // 00000000293C: D1D30330 04C29F4E
	v_rcp_f32_e32 v48, v48                                     // 000000002944: 7E604530
	s_nop 1                                                    // 000000002948: BF800001
	v_mul_f32_e32 v48, 0x42fe0000, v48                         // 00000000294C: 0A6060FF 42FE0000
	v_mul_f32_e32 v80, v48, v80                                // 000000002954: 0AA0A130
	v_mul_f32_e32 v81, v48, v81                                // 000000002958: 0AA2A330
	v_mul_f32_e32 v82, v48, v82                                // 00000000295C: 0AA4A530
	v_mul_f32_e32 v83, v48, v83                                // 000000002960: 0AA6A730
	v_mul_f32_e32 v84, v48, v84                                // 000000002964: 0AA8A930
	v_mul_f32_e32 v85, v48, v85                                // 000000002968: 0AAAAB30
	v_mul_f32_e32 v86, v48, v86                                // 00000000296C: 0AACAD30
	v_mul_f32_e32 v87, v48, v87                                // 000000002970: 0AAEAF30
	v_cvt_i32_f32_e32 v80, v80                                 // 000000002974: 7EA01150
	v_cvt_i32_f32_e32 v81, v81                                 // 000000002978: 7EA21151
	v_cvt_i32_f32_e32 v82, v82                                 // 00000000297C: 7EA41152
	v_cvt_i32_f32_e32 v83, v83                                 // 000000002980: 7EA61153
	v_cvt_i32_f32_e32 v84, v84                                 // 000000002984: 7EA81154
	v_cvt_i32_f32_e32 v85, v85                                 // 000000002988: 7EAA1155
	v_cvt_i32_f32_e32 v86, v86                                 // 00000000298C: 7EAC1156
	v_cvt_i32_f32_e32 v87, v87                                 // 000000002990: 7EAE1157
	v_rcp_f32_e32 v18, v48                                     // 000000002994: 7E244530
	v_perm_b32 v80, v81, v80, s53                              // 000000002998: D1ED0050 00D6A151
	v_perm_b32 v80, v82, v80, s54                              // 0000000029A0: D1ED0050 00DAA152
	v_perm_b32 v80, v83, v80, s55                              // 0000000029A8: D1ED0050 00DEA153
	v_perm_b32 v81, v85, v84, s53                              // 0000000029B0: D1ED0051 00D6A955
	v_perm_b32 v81, v86, v81, s54                              // 0000000029B8: D1ED0051 00DAA356
	v_perm_b32 v81, v87, v81, s55                              // 0000000029C0: D1ED0051 00DEA357
	ds_write_b32 v10, v80 offset:25088                         // 0000000029C8: D81A6200 0000500A
	ds_write_b32 v10, v81 offset:26112                         // 0000000029D0: D81A6600 0000510A
	s_waitcnt lgkmcnt(0)                                       // 0000000029D8: BF8CC07F
	s_barrier                                                  // 0000000029DC: BF8A0000
	ds_read_b64 v[80:81], v9 offset:25088                      // 0000000029E0: D8EC6200 50000009
	ds_read_b64 v[82:83], v9 offset:25216                      // 0000000029E8: D8EC6280 52000009
	ds_read_b64 v[84:85], v9 offset:26112                      // 0000000029F0: D8EC6600 54000009
	ds_read_b64 v[86:87], v9 offset:26240                      // 0000000029F8: D8EC6680 56000009
	v_mov_b32_e32 v208, 0                                      // 000000002A00: 7FA00280
	v_mov_b32_e32 v209, 0                                      // 000000002A04: 7FA20280
	v_mov_b32_e32 v210, 0                                      // 000000002A08: 7FA40280
	v_mov_b32_e32 v211, 0                                      // 000000002A0C: 7FA60280
	v_mov_b32_e32 v212, 0                                      // 000000002A10: 7FA80280
	v_mov_b32_e32 v213, 0                                      // 000000002A14: 7FAA0280
	v_mov_b32_e32 v214, 0                                      // 000000002A18: 7FAC0280
	v_mov_b32_e32 v215, 0                                      // 000000002A1C: 7FAE0280
	v_mov_b32_e32 v176, 0                                      // 000000002A20: 7F600280
	v_mov_b32_e32 v177, 0                                      // 000000002A24: 7F620280
	v_mov_b32_e32 v178, 0                                      // 000000002A28: 7F640280
	v_mov_b32_e32 v179, 0                                      // 000000002A2C: 7F660280
	v_mov_b32_e32 v180, 0                                      // 000000002A30: 7F680280
	v_mov_b32_e32 v181, 0                                      // 000000002A34: 7F6A0280
	v_mov_b32_e32 v182, 0                                      // 000000002A38: 7F6C0280
	v_mov_b32_e32 v183, 0                                      // 000000002A3C: 7F6E0280
	s_waitcnt vmcnt(8) lgkmcnt(0)                              // 000000002A40: BF8C0078
	s_barrier                                                  // 000000002A44: BF8A0000
	s_cmp_lt_u32 s73, 16                                       // 000000002A48: BF0A9049
	s_cbranch_scc1 label_0C13                                  // 000000002A4C: BF8509FF
	s_cmp_lt_i32 s7, 2                                         // 000000002A50: BF048207
	s_cbranch_scc0 label_0716                                  // 000000002A54: BF840500

0000000000002a58 <label_0216>:
	s_waitcnt vmcnt(8) lgkmcnt(0)                              // 000000002A58: BF8C0078
	v_mul_u32_u24_dpp v64, v17, v54 row_newbcast:0 row_mask:0xf bank_mask:0xf// 000000002A5C: 10806CFA FF015011
	v_mul_u32_u24_dpp v65, v17, v54 row_newbcast:4 row_mask:0xf bank_mask:0xf// 000000002A64: 10826CFA FF015411
	v_mul_u32_u24_dpp v66, v17, v54 row_newbcast:8 row_mask:0xf bank_mask:0xf// 000000002A6C: 10846CFA FF015811
	v_mul_u32_u24_dpp v67, v17, v54 row_newbcast:12 row_mask:0xf bank_mask:0xf// 000000002A74: 10866CFA FF015C11
	v_add_u32_e32 v26, v64, v5                                 // 000000002A7C: 68340B40
	v_add_u32_e32 v27, v65, v5                                 // 000000002A80: 68360B41
	v_add_u32_e32 v28, v66, v5                                 // 000000002A84: 68380B42
	v_add_u32_e32 v29, v67, v5                                 // 000000002A88: 683A0B43
	v_mul_u32_u24_dpp v64, v17, v63 quad_perm:[0,0,0,0] row_mask:0xf bank_mask:0xf// 000000002A8C: 10807EFA FF000011
	v_add_u32_e32 v3, v64, v59                                 // 000000002A94: 68067740
	v_mul_u32_u24_dpp v64, v17, v63 quad_perm:[0,0,0,0] row_mask:0xf bank_mask:0xf// 000000002A98: 10807EFA FF000011
	v_add_u32_e32 v56, v64, v60                                // 000000002AA0: 68707940
	v_mfma_i32_16x16x32_i8 v[112:115], a[0:1], v[80:81], 0     // 000000002AA4: D3D70070 0A02A100
	v_mfma_i32_16x16x32_i8 v[112:115], a[2:3], v[82:83], v[112:115]// 000000002AAC: D3D70070 0DC2A502
	buffer_load_dwordx4 a[32:35], v26, s[16:19], 0 offen       // 000000002AB4: E05C1000 8084201A
	v_mfma_i32_16x16x32_i8 v[112:115], a[4:5], v[84:85], v[112:115]// 000000002ABC: D3D70070 0DC2A904
	v_mfma_i32_16x16x32_i8 v[112:115], a[6:7], v[86:87], v[112:115]// 000000002AC4: D3D70070 0DC2AD06
	buffer_load_dword v16, v1, s[24:27], 0 offen               // 000000002ACC: E0501000 80061001
	v_mfma_i32_16x16x32_i8 v[116:119], a[8:9], v[80:81], 0     // 000000002AD4: D3D70074 0A02A108
	v_mfma_i32_16x16x32_i8 v[116:119], a[10:11], v[82:83], v[116:119]// 000000002ADC: D3D70074 0DD2A50A
	buffer_load_dwordx4 a[36:39], v26, s[16:19], 0 offen offset:1024// 000000002AE4: E05C1400 8084241A
	v_mfma_i32_16x16x32_i8 v[116:119], a[12:13], v[84:85], v[116:119]// 000000002AEC: D3D70074 0DD2A90C
	v_mfma_i32_16x16x32_i8 v[116:119], a[14:15], v[86:87], v[116:119]// 000000002AF4: D3D70074 0DD2AD0E
	v_mfma_i32_16x16x32_i8 v[120:123], a[16:17], v[80:81], 0   // 000000002AFC: D3D70078 0A02A110
	v_mfma_i32_16x16x32_i8 v[120:123], a[18:19], v[82:83], v[120:123]// 000000002B04: D3D70078 0DE2A512
	buffer_load_dwordx4 a[40:43], v27, s[16:19], 0 offen       // 000000002B0C: E05C1000 8084281B
	v_mfma_i32_16x16x32_i8 v[120:123], a[20:21], v[84:85], v[120:123]// 000000002B14: D3D70078 0DE2A914
	v_mfma_i32_16x16x32_i8 v[120:123], a[22:23], v[86:87], v[120:123]// 000000002B1C: D3D70078 0DE2AD16
	v_mfma_i32_16x16x32_i8 v[124:127], a[24:25], v[80:81], 0   // 000000002B24: D3D7007C 0A02A118
	v_mfma_i32_16x16x32_i8 v[124:127], a[26:27], v[82:83], v[124:127]// 000000002B2C: D3D7007C 0DF2A51A
	buffer_load_dwordx4 a[44:47], v27, s[16:19], 0 offen offset:1024// 000000002B34: E05C1400 80842C1B
	v_mfma_i32_16x16x32_i8 v[124:127], a[28:29], v[84:85], v[124:127]// 000000002B3C: D3D7007C 0DF2A91C
	v_mfma_i32_16x16x32_i8 v[124:127], a[30:31], v[86:87], v[124:127]// 000000002B44: D3D7007C 0DF2AD1E
	buffer_load_dword v43, v3, s[32:35], 0 offen               // 000000002B4C: E0501000 80082B03
	v_mov_b32_dpp v64, v42 row_shr:4 row_mask:0xf bank_mask:0xf// 000000002B54: 7E8002FA FF01142A
	v_mov_b32_dpp v65, v42 row_shl:4 row_mask:0xf bank_mask:0xf// 000000002B5C: 7E8202FA FF01042A
	v_cndmask_b32_e64 v248, v42, v64, s[44:45]                 // 000000002B64: D10000F8 00B2812A
	v_cndmask_b32_e64 v249, v65, v42, s[44:45]                 // 000000002B6C: D10000F9 00B25541
	v_mov_b32_dpp v64, v248 row_shr:8 row_mask:0xf bank_mask:0xf// 000000002B74: 7E8002FA FF0118F8
	v_mov_b32_dpp v65, v248 row_shl:8 row_mask:0xf bank_mask:0xf// 000000002B7C: 7E8202FA FF0108F8
	v_mov_b32_dpp v66, v249 row_shr:8 row_mask:0xf bank_mask:0xf// 000000002B84: 7E8402FA FF0118F9
	v_mov_b32_dpp v67, v249 row_shl:8 row_mask:0xf bank_mask:0xf// 000000002B8C: 7E8602FA FF0108F9
	v_mov_b32_e32 v68, v248                                    // 000000002B94: 7E8803F8
	v_mov_b32_e32 v69, v249                                    // 000000002B98: 7E8A03F9
	v_cndmask_b32_e64 v248, v68, v64, s[42:43]                 // 000000002B9C: D10000F8 00AA8144
	v_cndmask_b32_e64 v250, v68, v65, s[78:79]                 // 000000002BA4: D10000FA 013A8344
	v_cndmask_b32_e64 v249, v69, v66, s[42:43]                 // 000000002BAC: D10000F9 00AA8545
	v_cndmask_b32_e64 v251, v69, v67, s[78:79]                 // 000000002BB4: D10000FB 013A8745
	v_mov_b32_dpp v64, v57 row_shr:4 row_mask:0xf bank_mask:0xf// 000000002BBC: 7E8002FA FF011439
	v_mov_b32_dpp v65, v57 row_shl:4 row_mask:0xf bank_mask:0xf// 000000002BC4: 7E8202FA FF010439
	v_cndmask_b32_e64 v252, v57, v64, s[44:45]                 // 000000002BCC: D10000FC 00B28139
	v_cndmask_b32_e64 v253, v65, v57, s[44:45]                 // 000000002BD4: D10000FD 00B27341
	v_mov_b32_dpp v64, v252 row_shr:8 row_mask:0xf bank_mask:0xf// 000000002BDC: 7E8002FA FF0118FC
	v_mov_b32_dpp v65, v252 row_shl:8 row_mask:0xf bank_mask:0xf// 000000002BE4: 7E8202FA FF0108FC
	v_mov_b32_dpp v66, v253 row_shr:8 row_mask:0xf bank_mask:0xf// 000000002BEC: 7E8402FA FF0118FD
	v_mov_b32_dpp v67, v253 row_shl:8 row_mask:0xf bank_mask:0xf// 000000002BF4: 7E8602FA FF0108FD
	v_mov_b32_e32 v68, v252                                    // 000000002BFC: 7E8803FC
	v_mov_b32_e32 v69, v253                                    // 000000002C00: 7E8A03FD
	v_cndmask_b32_e64 v252, v68, v64, s[42:43]                 // 000000002C04: D10000FC 00AA8144
	v_cndmask_b32_e64 v254, v68, v65, s[78:79]                 // 000000002C0C: D10000FE 013A8344
	v_cndmask_b32_e64 v253, v69, v66, s[42:43]                 // 000000002C14: D10000FD 00AA8545
	v_cndmask_b32_e64 v255, v69, v67, s[78:79]                 // 000000002C1C: D10000FF 013A8745
	buffer_load_dword v58, v56, s[36:39], 0 offen              // 000000002C24: E0501000 80093A38
	v_cvt_f32_i32_e32 v112, v112                               // 000000002C2C: 7EE00B70
	v_cvt_f32_i32_e32 v113, v113                               // 000000002C30: 7EE20B71
	v_cvt_f32_i32_e32 v114, v114                               // 000000002C34: 7EE40B72
	v_cvt_f32_i32_e32 v115, v115                               // 000000002C38: 7EE60B73
	v_cvt_f32_i32_e32 v116, v116                               // 000000002C3C: 7EE80B74
	v_cvt_f32_i32_e32 v117, v117                               // 000000002C40: 7EEA0B75
	v_cvt_f32_i32_e32 v118, v118                               // 000000002C44: 7EEC0B76
	v_cvt_f32_i32_e32 v119, v119                               // 000000002C48: 7EEE0B77
	v_cvt_f32_i32_e32 v120, v120                               // 000000002C4C: 7EF00B78
	v_cvt_f32_i32_e32 v121, v121                               // 000000002C50: 7EF20B79
	v_cvt_f32_i32_e32 v122, v122                               // 000000002C54: 7EF40B7A
	v_cvt_f32_i32_e32 v123, v123                               // 000000002C58: 7EF60B7B
	v_cvt_f32_i32_e32 v124, v124                               // 000000002C5C: 7EF80B7C
	v_cvt_f32_i32_e32 v125, v125                               // 000000002C60: 7EFA0B7D
	v_cvt_f32_i32_e32 v126, v126                               // 000000002C64: 7EFC0B7E
	v_cvt_f32_i32_e32 v127, v127                               // 000000002C68: 7EFE0B7F
	v_mul_f32_e32 v112, v18, v112                              // 000000002C6C: 0AE0E112
	v_mul_f32_e32 v113, v18, v113                              // 000000002C70: 0AE2E312
	v_mul_f32_e32 v114, v18, v114                              // 000000002C74: 0AE4E512
	v_mul_f32_e32 v115, v18, v115                              // 000000002C78: 0AE6E712
	v_mul_f32_e32 v116, v18, v116                              // 000000002C7C: 0AE8E912
	v_mul_f32_e32 v117, v18, v117                              // 000000002C80: 0AEAEB12
	v_mul_f32_e32 v118, v18, v118                              // 000000002C84: 0AECED12
	v_mul_f32_e32 v119, v18, v119                              // 000000002C88: 0AEEEF12
	v_mul_f32_e32 v120, v18, v120                              // 000000002C8C: 0AF0F112
	v_mul_f32_e32 v121, v18, v121                              // 000000002C90: 0AF2F312
	v_mul_f32_e32 v122, v18, v122                              // 000000002C94: 0AF4F512
	v_mul_f32_e32 v123, v18, v123                              // 000000002C98: 0AF6F712
	v_mul_f32_e32 v124, v18, v124                              // 000000002C9C: 0AF8F912
	v_mul_f32_e32 v125, v18, v125                              // 000000002CA0: 0AFAFB12
	v_mul_f32_e32 v126, v18, v126                              // 000000002CA4: 0AFCFD12
	v_mul_f32_e32 v127, v18, v127                              // 000000002CA8: 0AFEFF12
	buffer_load_dwordx4 a[48:51], v28, s[16:19], 0 offen       // 000000002CAC: E05C1000 8084301C
	v_mul_f32_dpp v112, v248, v112 quad_perm:[0,0,0,0] row_mask:0xf bank_mask:0xf// 000000002CB4: 0AE0E0FA FF0000F8
	v_mul_f32_dpp v113, v248, v113 quad_perm:[1,1,1,1] row_mask:0xf bank_mask:0xf// 000000002CBC: 0AE2E2FA FF0055F8
	v_mul_f32_dpp v114, v248, v114 quad_perm:[2,2,2,2] row_mask:0xf bank_mask:0xf// 000000002CC4: 0AE4E4FA FF00AAF8
	v_mul_f32_dpp v115, v248, v115 quad_perm:[3,3,3,3] row_mask:0xf bank_mask:0xf// 000000002CCC: 0AE6E6FA FF00FFF8
	v_mul_f32_dpp v116, v249, v116 quad_perm:[0,0,0,0] row_mask:0xf bank_mask:0xf// 000000002CD4: 0AE8E8FA FF0000F9
	v_mul_f32_dpp v117, v249, v117 quad_perm:[1,1,1,1] row_mask:0xf bank_mask:0xf// 000000002CDC: 0AEAEAFA FF0055F9
	v_mul_f32_dpp v118, v249, v118 quad_perm:[2,2,2,2] row_mask:0xf bank_mask:0xf// 000000002CE4: 0AECECFA FF00AAF9
	v_mul_f32_dpp v119, v249, v119 quad_perm:[3,3,3,3] row_mask:0xf bank_mask:0xf// 000000002CEC: 0AEEEEFA FF00FFF9
	v_mul_f32_dpp v120, v250, v120 quad_perm:[0,0,0,0] row_mask:0xf bank_mask:0xf// 000000002CF4: 0AF0F0FA FF0000FA
	v_mul_f32_dpp v121, v250, v121 quad_perm:[1,1,1,1] row_mask:0xf bank_mask:0xf// 000000002CFC: 0AF2F2FA FF0055FA
	v_mul_f32_dpp v122, v250, v122 quad_perm:[2,2,2,2] row_mask:0xf bank_mask:0xf// 000000002D04: 0AF4F4FA FF00AAFA
	v_mul_f32_dpp v123, v250, v123 quad_perm:[3,3,3,3] row_mask:0xf bank_mask:0xf// 000000002D0C: 0AF6F6FA FF00FFFA
	v_mul_f32_dpp v124, v251, v124 quad_perm:[0,0,0,0] row_mask:0xf bank_mask:0xf// 000000002D14: 0AF8F8FA FF0000FB
	v_mul_f32_dpp v125, v251, v125 quad_perm:[1,1,1,1] row_mask:0xf bank_mask:0xf// 000000002D1C: 0AFAFAFA FF0055FB
	v_mul_f32_dpp v126, v251, v126 quad_perm:[2,2,2,2] row_mask:0xf bank_mask:0xf// 000000002D24: 0AFCFCFA FF00AAFB
	v_mul_f32_dpp v127, v251, v127 quad_perm:[3,3,3,3] row_mask:0xf bank_mask:0xf// 000000002D2C: 0AFEFEFA FF00FFFB
	buffer_load_dwordx4 a[52:55], v28, s[16:19], 0 offen offset:1024// 000000002D34: E05C1400 8084341C
	v_mov_b32_e32 v48, v112                                    // 000000002D3C: 7E600370
	v_max3_f32 v48, v112, v113, v48                            // 000000002D40: D1D30030 04C2E370
	v_max3_f32 v48, v114, v115, v48                            // 000000002D48: D1D30030 04C2E772
	v_max3_f32 v48, v116, v117, v48                            // 000000002D50: D1D30030 04C2EB74
	v_max3_f32 v48, v118, v119, v48                            // 000000002D58: D1D30030 04C2EF76
	v_max3_f32 v48, v120, v121, v48                            // 000000002D60: D1D30030 04C2F378
	v_max3_f32 v48, v122, v123, v48                            // 000000002D68: D1D30030 04C2F77A
	v_max3_f32 v48, v124, v125, v48                            // 000000002D70: D1D30030 04C2FB7C
	v_max3_f32 v48, v126, v127, v48                            // 000000002D78: D1D30030 04C2FF7E
	ds_write_b32 v8, v48 offset:16896                          // 000000002D80: D81A4200 00003008
	buffer_load_dwordx4 a[56:59], v29, s[16:19], 0 offen       // 000000002D88: E05C1000 8084381D
	v_mul_u32_u24_dpp v64, v17, v54 row_newbcast:1 row_mask:0xf bank_mask:0xf// 000000002D90: 10806CFA FF015111
	v_mul_u32_u24_dpp v65, v17, v54 row_newbcast:5 row_mask:0xf bank_mask:0xf// 000000002D98: 10826CFA FF015511
	v_mul_u32_u24_dpp v66, v17, v54 row_newbcast:9 row_mask:0xf bank_mask:0xf// 000000002DA0: 10846CFA FF015911
	v_mul_u32_u24_dpp v67, v17, v54 row_newbcast:13 row_mask:0xf bank_mask:0xf// 000000002DA8: 10866CFA FF015D11
	v_add_u32_e32 v34, v64, v6                                 // 000000002DB0: 68440D40
	v_add_u32_e32 v35, v65, v6                                 // 000000002DB4: 68460D41
	v_add_u32_e32 v36, v66, v6                                 // 000000002DB8: 68480D42
	v_add_u32_e32 v37, v67, v6                                 // 000000002DBC: 684A0D43
	v_mul_f32_e32 v208, v49, v208                              // 000000002DC0: 0BA1A131
	v_mul_f32_e32 v209, v49, v209                              // 000000002DC4: 0BA3A331
	v_mul_f32_e32 v210, v49, v210                              // 000000002DC8: 0BA5A531
	v_mul_f32_e32 v211, v49, v211                              // 000000002DCC: 0BA7A731
	v_mul_f32_e32 v212, v49, v212                              // 000000002DD0: 0BA9A931
	v_mul_f32_e32 v213, v49, v213                              // 000000002DD4: 0BABAB31
	v_mul_f32_e32 v214, v49, v214                              // 000000002DD8: 0BADAD31
	v_mul_f32_e32 v215, v49, v215                              // 000000002DDC: 0BAFAF31
	s_waitcnt lgkmcnt(0)                                       // 000000002DE0: BF8CC07F
	s_barrier                                                  // 000000002DE4: BF8A0000
	ds_read_b32 v64, v7 offset:16896                           // 000000002DE8: D86C4200 40000007
	ds_read_b32 v65, v7 offset:16960                           // 000000002DF0: D86C4240 41000007
	ds_read_b32 v66, v7 offset:17024                           // 000000002DF8: D86C4280 42000007
	ds_read_b32 v67, v7 offset:17088                           // 000000002E00: D86C42C0 43000007
	ds_read_b32 v68, v7 offset:17152                           // 000000002E08: D86C4300 44000007
	ds_read_b32 v69, v7 offset:17216                           // 000000002E10: D86C4340 45000007
	ds_read_b32 v70, v7 offset:17280                           // 000000002E18: D86C4380 46000007
	ds_read_b32 v71, v7 offset:17344                           // 000000002E20: D86C43C0 47000007
	ds_read_b32 v72, v7 offset:17408                           // 000000002E28: D86C4400 48000007
	ds_read_b32 v73, v7 offset:17472                           // 000000002E30: D86C4440 49000007
	ds_read_b32 v74, v7 offset:17536                           // 000000002E38: D86C4480 4A000007
	ds_read_b32 v75, v7 offset:17600                           // 000000002E40: D86C44C0 4B000007
	ds_read_b32 v76, v7 offset:17664                           // 000000002E48: D86C4500 4C000007
	ds_read_b32 v77, v7 offset:17728                           // 000000002E50: D86C4540 4D000007
	ds_read_b32 v78, v7 offset:17792                           // 000000002E58: D86C4580 4E000007
	ds_read_b32 v79, v7 offset:17856                           // 000000002E60: D86C45C0 4F000007
	buffer_load_dwordx4 a[60:63], v29, s[16:19], 0 offen offset:1024// 000000002E68: E05C1400 80843C1D
	v_cvt_f32_i32_e32 v176, v176                               // 000000002E70: 7F600BB0
	v_cvt_f32_i32_e32 v177, v177                               // 000000002E74: 7F620BB1
	v_cvt_f32_i32_e32 v178, v178                               // 000000002E78: 7F640BB2
	v_cvt_f32_i32_e32 v179, v179                               // 000000002E7C: 7F660BB3
	v_cvt_f32_i32_e32 v180, v180                               // 000000002E80: 7F680BB4
	v_cvt_f32_i32_e32 v181, v181                               // 000000002E84: 7F6A0BB5
	v_cvt_f32_i32_e32 v182, v182                               // 000000002E88: 7F6C0BB6
	v_cvt_f32_i32_e32 v183, v183                               // 000000002E8C: 7F6E0BB7
	v_mul_f32_e32 v176, v44, v176                              // 000000002E90: 0B61612C
	v_mul_f32_e32 v177, v44, v177                              // 000000002E94: 0B63632C
	v_mul_f32_e32 v178, v44, v178                              // 000000002E98: 0B65652C
	v_mul_f32_e32 v179, v44, v179                              // 000000002E9C: 0B67672C
	v_mul_f32_e32 v180, v44, v180                              // 000000002EA0: 0B69692C
	v_mul_f32_e32 v181, v44, v181                              // 000000002EA4: 0B6B6B2C
	v_mul_f32_e32 v182, v44, v182                              // 000000002EA8: 0B6D6D2C
	v_mul_f32_e32 v183, v44, v183                              // 000000002EAC: 0B6F6F2C
	s_waitcnt lgkmcnt(0)                                       // 000000002EB0: BF8CC07F
	v_max3_f32 v48, v64, v65, v48                              // 000000002EB4: D1D30030 04C28340
	v_max3_f32 v48, v66, v67, v48                              // 000000002EBC: D1D30030 04C28742
	v_max3_f32 v48, v68, v69, v48                              // 000000002EC4: D1D30030 04C28B44
	v_max3_f32 v48, v70, v71, v48                              // 000000002ECC: D1D30030 04C28F46
	v_max3_f32 v48, v72, v73, v48                              // 000000002ED4: D1D30030 04C29348
	v_max3_f32 v48, v74, v75, v48                              // 000000002EDC: D1D30030 04C2974A
	v_max3_f32 v48, v76, v77, v48                              // 000000002EE4: D1D30030 04C29B4C
	v_max3_f32 v48, v78, v79, v48                              // 000000002EEC: D1D30030 04C29F4E
	buffer_load_dwordx4 a[96:99], v34, s[20:23], 0 offen       // 000000002EF4: E05C1000 80856022
	v_mov_b32_e32 v64, 0xff800000                              // 000000002EFC: 7E8002FF FF800000
	v_cmp_eq_u32_e64 s[40:41], v64, v11                        // 000000002F04: D0CA0028 00021740
	s_nop 1                                                    // 000000002F0C: BF800001
	v_max_f32_e32 v15, v48, v11                                // 000000002F10: 161E1730
	v_mul_f32_e32 v53, s64, v15                                // 000000002F14: 0A6A1E40
	v_fma_f32 v112, v112, s64, -v53                            // 000000002F18: D1CB0070 84D48170
	v_fma_f32 v113, v113, s64, -v53                            // 000000002F20: D1CB0071 84D48171
	v_fma_f32 v114, v114, s64, -v53                            // 000000002F28: D1CB0072 84D48172
	v_fma_f32 v115, v115, s64, -v53                            // 000000002F30: D1CB0073 84D48173
	v_fma_f32 v116, v116, s64, -v53                            // 000000002F38: D1CB0074 84D48174
	v_fma_f32 v117, v117, s64, -v53                            // 000000002F40: D1CB0075 84D48175
	v_fma_f32 v118, v118, s64, -v53                            // 000000002F48: D1CB0076 84D48176
	v_fma_f32 v119, v119, s64, -v53                            // 000000002F50: D1CB0077 84D48177
	v_fma_f32 v120, v120, s64, -v53                            // 000000002F58: D1CB0078 84D48178
	v_fma_f32 v121, v121, s64, -v53                            // 000000002F60: D1CB0079 84D48179
	v_fma_f32 v122, v122, s64, -v53                            // 000000002F68: D1CB007A 84D4817A
	v_fma_f32 v123, v123, s64, -v53                            // 000000002F70: D1CB007B 84D4817B
	v_fma_f32 v124, v124, s64, -v53                            // 000000002F78: D1CB007C 84D4817C
	v_fma_f32 v125, v125, s64, -v53                            // 000000002F80: D1CB007D 84D4817D
	v_fma_f32 v126, v126, s64, -v53                            // 000000002F88: D1CB007E 84D4817E
	v_fma_f32 v127, v127, s64, -v53                            // 000000002F90: D1CB007F 84D4817F
	buffer_load_dwordx4 a[100:103], v35, s[20:23], 0 offen     // 000000002F98: E05C1000 80856423
	v_exp_f32_e32 v112, v112                                   // 000000002FA0: 7EE04170
	v_exp_f32_e32 v113, v113                                   // 000000002FA4: 7EE24171
	v_exp_f32_e32 v114, v114                                   // 000000002FA8: 7EE44172
	v_exp_f32_e32 v115, v115                                   // 000000002FAC: 7EE64173
	v_exp_f32_e32 v116, v116                                   // 000000002FB0: 7EE84174
	v_exp_f32_e32 v117, v117                                   // 000000002FB4: 7EEA4175
	v_exp_f32_e32 v118, v118                                   // 000000002FB8: 7EEC4176
	v_exp_f32_e32 v119, v119                                   // 000000002FBC: 7EEE4177
	v_exp_f32_e32 v120, v120                                   // 000000002FC0: 7EF04178
	v_exp_f32_e32 v121, v121                                   // 000000002FC4: 7EF24179
	v_exp_f32_e32 v122, v122                                   // 000000002FC8: 7EF4417A
	v_exp_f32_e32 v123, v123                                   // 000000002FCC: 7EF6417B
	v_exp_f32_e32 v124, v124                                   // 000000002FD0: 7EF8417C
	v_exp_f32_e32 v125, v125                                   // 000000002FD4: 7EFA417D
	v_exp_f32_e32 v126, v126                                   // 000000002FD8: 7EFC417E
	v_exp_f32_e32 v127, v127                                   // 000000002FDC: 7EFE417F
	buffer_load_dwordx4 a[104:107], v36, s[20:23], 0 offen     // 000000002FE0: E05C1000 80856824
	v_mul_f32_dpp v240, v252, v112 quad_perm:[0,0,0,0] row_mask:0xf bank_mask:0xf// 000000002FE8: 0BE0E0FA FF0000FC
	v_mul_f32_dpp v241, v252, v113 quad_perm:[1,1,1,1] row_mask:0xf bank_mask:0xf// 000000002FF0: 0BE2E2FA FF0055FC
	v_mul_f32_dpp v242, v252, v114 quad_perm:[2,2,2,2] row_mask:0xf bank_mask:0xf// 000000002FF8: 0BE4E4FA FF00AAFC
	v_mul_f32_dpp v243, v252, v115 quad_perm:[3,3,3,3] row_mask:0xf bank_mask:0xf// 000000003000: 0BE6E6FA FF00FFFC
	v_mul_f32_dpp v244, v253, v116 quad_perm:[0,0,0,0] row_mask:0xf bank_mask:0xf// 000000003008: 0BE8E8FA FF0000FD
	v_mul_f32_dpp v245, v253, v117 quad_perm:[1,1,1,1] row_mask:0xf bank_mask:0xf// 000000003010: 0BEAEAFA FF0055FD
	v_mul_f32_dpp v246, v253, v118 quad_perm:[2,2,2,2] row_mask:0xf bank_mask:0xf// 000000003018: 0BECECFA FF00AAFD
	v_mul_f32_dpp v247, v253, v119 quad_perm:[3,3,3,3] row_mask:0xf bank_mask:0xf// 000000003020: 0BEEEEFA FF00FFFD
	v_mul_f32_dpp v248, v254, v120 quad_perm:[0,0,0,0] row_mask:0xf bank_mask:0xf// 000000003028: 0BF0F0FA FF0000FE
	v_mul_f32_dpp v249, v254, v121 quad_perm:[1,1,1,1] row_mask:0xf bank_mask:0xf// 000000003030: 0BF2F2FA FF0055FE
	v_mul_f32_dpp v250, v254, v122 quad_perm:[2,2,2,2] row_mask:0xf bank_mask:0xf// 000000003038: 0BF4F4FA FF00AAFE
	v_mul_f32_dpp v251, v254, v123 quad_perm:[3,3,3,3] row_mask:0xf bank_mask:0xf// 000000003040: 0BF6F6FA FF00FFFE
	v_mul_f32_dpp v252, v255, v124 quad_perm:[0,0,0,0] row_mask:0xf bank_mask:0xf// 000000003048: 0BF8F8FA FF0000FF
	v_mul_f32_dpp v253, v255, v125 quad_perm:[1,1,1,1] row_mask:0xf bank_mask:0xf// 000000003050: 0BFAFAFA FF0055FF
	v_mul_f32_dpp v254, v255, v126 quad_perm:[2,2,2,2] row_mask:0xf bank_mask:0xf// 000000003058: 0BFCFCFA FF00AAFF
	v_mul_f32_dpp v255, v255, v127 quad_perm:[3,3,3,3] row_mask:0xf bank_mask:0xf// 000000003060: 0BFEFEFA FF00FFFF
	v_mov_b32_e32 v48, 0x358637bd                              // 000000003068: 7E6002FF 358637BD
	v_max3_f32 v48, |v240|, |v241|, v48                        // 000000003070: D1D30330 04C3E3F0
	v_max3_f32 v48, |v242|, |v243|, v48                        // 000000003078: D1D30330 04C3E7F2
	v_max3_f32 v48, |v244|, |v245|, v48                        // 000000003080: D1D30330 04C3EBF4
	v_max3_f32 v48, |v246|, |v247|, v48                        // 000000003088: D1D30330 04C3EFF6
	v_max3_f32 v48, |v248|, |v249|, v48                        // 000000003090: D1D30330 04C3F3F8
	v_max3_f32 v48, |v250|, |v251|, v48                        // 000000003098: D1D30330 04C3F7FA
	v_max3_f32 v48, |v252|, |v253|, v48                        // 0000000030A0: D1D30330 04C3FBFC
	v_max3_f32 v48, |v254|, |v255|, v48                        // 0000000030A8: D1D30330 04C3FFFE
	buffer_load_dwordx4 a[108:111], v37, s[20:23], 0 offen     // 0000000030B0: E05C1000 80856C25
	ds_write_b32 v8, v48 offset:20992                          // 0000000030B8: D81A5200 00003008
	v_sub_f32_e32 v49, v11, v15                                // 0000000030C0: 04621F0B
	v_cndmask_b32_e64 v49, v49, 0, s[40:41]                    // 0000000030C4: D1000031 00A10131
	v_mov_b32_e32 v11, v15                                     // 0000000030CC: 7E16030F
	v_mul_f32_e32 v49, s64, v49                                // 0000000030D0: 0A626240
	v_exp_f32_e32 v49, v49                                     // 0000000030D4: 7E624131
	s_waitcnt lgkmcnt(0)                                       // 0000000030D8: BF8CC07F
	s_barrier                                                  // 0000000030DC: BF8A0000
	ds_read_b32 v64, v7 offset:20992                           // 0000000030E0: D86C5200 40000007
	ds_read_b32 v65, v7 offset:21056                           // 0000000030E8: D86C5240 41000007
	ds_read_b32 v66, v7 offset:21120                           // 0000000030F0: D86C5280 42000007
	ds_read_b32 v67, v7 offset:21184                           // 0000000030F8: D86C52C0 43000007
	ds_read_b32 v68, v7 offset:21248                           // 000000003100: D86C5300 44000007
	ds_read_b32 v69, v7 offset:21312                           // 000000003108: D86C5340 45000007
	ds_read_b32 v70, v7 offset:21376                           // 000000003110: D86C5380 46000007
	ds_read_b32 v71, v7 offset:21440                           // 000000003118: D86C53C0 47000007
	ds_read_b32 v72, v7 offset:21504                           // 000000003120: D86C5400 48000007
	ds_read_b32 v73, v7 offset:21568                           // 000000003128: D86C5440 49000007
	ds_read_b32 v74, v7 offset:21632                           // 000000003130: D86C5480 4A000007
	ds_read_b32 v75, v7 offset:21696                           // 000000003138: D86C54C0 4B000007
	ds_read_b32 v76, v7 offset:21760                           // 000000003140: D86C5500 4C000007
	ds_read_b32 v77, v7 offset:21824                           // 000000003148: D86C5540 4D000007
	ds_read_b32 v78, v7 offset:21888                           // 000000003150: D86C5580 4E000007
	ds_read_b32 v79, v7 offset:21952                           // 000000003158: D86C55C0 4F000007
	v_mul_f32_e32 v38, v49, v38                                // 000000003160: 0A4C4D31
	v_mov_b32_e32 v15, v112                                    // 000000003164: 7E1E0370
	v_add_f32_e32 v15, v113, v15                               // 000000003168: 021E1F71
	v_add_f32_e32 v15, v114, v15                               // 00000000316C: 021E1F72
	v_add_f32_e32 v15, v115, v15                               // 000000003170: 021E1F73
	v_add_f32_e32 v15, v116, v15                               // 000000003174: 021E1F74
	v_add_f32_e32 v15, v117, v15                               // 000000003178: 021E1F75
	v_add_f32_e32 v15, v118, v15                               // 00000000317C: 021E1F76
	v_add_f32_e32 v15, v119, v15                               // 000000003180: 021E1F77
	v_add_f32_e32 v15, v120, v15                               // 000000003184: 021E1F78
	v_add_f32_e32 v15, v121, v15                               // 000000003188: 021E1F79
	v_add_f32_e32 v15, v122, v15                               // 00000000318C: 021E1F7A
	v_add_f32_e32 v15, v123, v15                               // 000000003190: 021E1F7B
	v_add_f32_e32 v15, v124, v15                               // 000000003194: 021E1F7C
	v_add_f32_e32 v15, v125, v15                               // 000000003198: 021E1F7D
	v_add_f32_e32 v15, v126, v15                               // 00000000319C: 021E1F7E
	v_add_f32_e32 v15, v127, v15                               // 0000000031A0: 021E1F7F
	v_add_f32_e32 v38, v15, v38                                // 0000000031A4: 024C4D0F
	s_waitcnt lgkmcnt(0)                                       // 0000000031A8: BF8CC07F
	v_max3_f32 v48, |v64|, |v65|, v48                          // 0000000031AC: D1D30330 04C28340
	v_max3_f32 v48, |v66|, |v67|, v48                          // 0000000031B4: D1D30330 04C28742
	v_max3_f32 v48, |v68|, |v69|, v48                          // 0000000031BC: D1D30330 04C28B44
	v_max3_f32 v48, |v70|, |v71|, v48                          // 0000000031C4: D1D30330 04C28F46
	v_max3_f32 v48, |v72|, |v73|, v48                          // 0000000031CC: D1D30330 04C29348
	v_max3_f32 v48, |v74|, |v75|, v48                          // 0000000031D4: D1D30330 04C2974A
	v_max3_f32 v48, |v76|, |v77|, v48                          // 0000000031DC: D1D30330 04C29B4C
	v_max3_f32 v48, |v78|, |v79|, v48                          // 0000000031E4: D1D30330 04C29F4E
	s_nop 2                                                    // 0000000031EC: BF800002
	v_rcp_f32_e32 v48, v48                                     // 0000000031F0: 7E604530
	s_nop 1                                                    // 0000000031F4: BF800001
	v_mul_f32_e32 v48, 0x42fe0000, v48                         // 0000000031F8: 0A6060FF 42FE0000
	v_mul_f32_e32 v112, v48, v240                              // 000000003200: 0AE1E130
	v_mul_f32_e32 v113, v48, v241                              // 000000003204: 0AE3E330
	v_mul_f32_e32 v114, v48, v242                              // 000000003208: 0AE5E530
	v_mul_f32_e32 v115, v48, v243                              // 00000000320C: 0AE7E730
	v_mul_f32_e32 v116, v48, v244                              // 000000003210: 0AE9E930
	v_mul_f32_e32 v117, v48, v245                              // 000000003214: 0AEBEB30
	v_mul_f32_e32 v118, v48, v246                              // 000000003218: 0AEDED30
	v_mul_f32_e32 v119, v48, v247                              // 00000000321C: 0AEFEF30
	v_mul_f32_e32 v120, v48, v248                              // 000000003220: 0AF1F130
	v_mul_f32_e32 v121, v48, v249                              // 000000003224: 0AF3F330
	v_mul_f32_e32 v122, v48, v250                              // 000000003228: 0AF5F530
	v_mul_f32_e32 v123, v48, v251                              // 00000000322C: 0AF7F730
	v_mul_f32_e32 v124, v48, v252                              // 000000003230: 0AF9F930
	v_mul_f32_e32 v125, v48, v253                              // 000000003234: 0AFBFB30
	v_mul_f32_e32 v126, v48, v254                              // 000000003238: 0AFDFD30
	v_mul_f32_e32 v127, v48, v255                              // 00000000323C: 0AFFFF30
	v_cvt_i32_f32_e32 v112, v112                               // 000000003240: 7EE01170
	v_cvt_i32_f32_e32 v113, v113                               // 000000003244: 7EE21171
	v_cvt_i32_f32_e32 v114, v114                               // 000000003248: 7EE41172
	v_cvt_i32_f32_e32 v115, v115                               // 00000000324C: 7EE61173
	v_cvt_i32_f32_e32 v116, v116                               // 000000003250: 7EE81174
	v_cvt_i32_f32_e32 v117, v117                               // 000000003254: 7EEA1175
	v_cvt_i32_f32_e32 v118, v118                               // 000000003258: 7EEC1176
	v_cvt_i32_f32_e32 v119, v119                               // 00000000325C: 7EEE1177
	v_cvt_i32_f32_e32 v120, v120                               // 000000003260: 7EF01178
	v_cvt_i32_f32_e32 v121, v121                               // 000000003264: 7EF21179
	v_cvt_i32_f32_e32 v122, v122                               // 000000003268: 7EF4117A
	v_cvt_i32_f32_e32 v123, v123                               // 00000000326C: 7EF6117B
	v_cvt_i32_f32_e32 v124, v124                               // 000000003270: 7EF8117C
	v_cvt_i32_f32_e32 v125, v125                               // 000000003274: 7EFA117D
	v_cvt_i32_f32_e32 v126, v126                               // 000000003278: 7EFC117E
	v_cvt_i32_f32_e32 v127, v127                               // 00000000327C: 7EFE117F
	v_perm_b32 v112, v113, v112, s53                           // 000000003280: D1ED0070 00D6E171
	v_perm_b32 v112, v114, v112, s54                           // 000000003288: D1ED0070 00DAE172
	v_perm_b32 v112, v115, v112, s55                           // 000000003290: D1ED0070 00DEE173
	v_perm_b32 v113, v117, v116, s53                           // 000000003298: D1ED0071 00D6E975
	v_perm_b32 v113, v118, v113, s54                           // 0000000032A0: D1ED0071 00DAE376
	v_perm_b32 v113, v119, v113, s55                           // 0000000032A8: D1ED0071 00DEE377
	v_perm_b32 v114, v121, v120, s53                           // 0000000032B0: D1ED0072 00D6F179
	v_perm_b32 v114, v122, v114, s54                           // 0000000032B8: D1ED0072 00DAE57A
	v_perm_b32 v114, v123, v114, s55                           // 0000000032C0: D1ED0072 00DEE57B
	v_perm_b32 v115, v125, v124, s53                           // 0000000032C8: D1ED0073 00D6F97D
	v_perm_b32 v115, v126, v115, s54                           // 0000000032D0: D1ED0073 00DAE77E
	v_perm_b32 v115, v127, v115, s55                           // 0000000032D8: D1ED0073 00DEE77F
	ds_write_b32 v10, v112 offset:25088                        // 0000000032E0: D81A6200 0000700A
	ds_write_b32 v10, v113 offset:26112                        // 0000000032E8: D81A6600 0000710A
	ds_write_b32 v10, v114 offset:27136                        // 0000000032F0: D81A6A00 0000720A
	ds_write_b32 v10, v115 offset:28160                        // 0000000032F8: D81A6E00 0000730A
	v_add_f32_e32 v208, v208, v176                             // 000000003300: 03A161D0
	v_add_f32_e32 v209, v209, v177                             // 000000003304: 03A363D1
	v_add_f32_e32 v210, v210, v178                             // 000000003308: 03A565D2
	v_add_f32_e32 v211, v211, v179                             // 00000000330C: 03A767D3
	v_add_f32_e32 v212, v212, v180                             // 000000003310: 03A969D4
	v_add_f32_e32 v213, v213, v181                             // 000000003314: 03AB6BD5
	v_add_f32_e32 v214, v214, v182                             // 000000003318: 03AD6DD6
	v_add_f32_e32 v215, v215, v183                             // 00000000331C: 03AF6FD7
	v_rcp_f32_e32 v44, v48                                     // 000000003320: 7E584530
	s_waitcnt lgkmcnt(0)                                       // 000000003324: BF8CC07F
	s_barrier                                                  // 000000003328: BF8A0000
	ds_read_b64 v[112:113], v9 offset:25088                    // 00000000332C: D8EC6200 70000009
	ds_read_b64 v[114:115], v9 offset:25216                    // 000000003334: D8EC6280 72000009
	ds_read_b64 v[116:117], v9 offset:26112                    // 00000000333C: D8EC6600 74000009
	ds_read_b64 v[118:119], v9 offset:26240                    // 000000003344: D8EC6680 76000009
	ds_read_b64 v[120:121], v9 offset:27136                    // 00000000334C: D8EC6A00 78000009
	ds_read_b64 v[122:123], v9 offset:27264                    // 000000003354: D8EC6A80 7A000009
	ds_read_b64 v[124:125], v9 offset:28160                    // 00000000335C: D8EC6E00 7C000009
	ds_read_b64 v[126:127], v9 offset:28288                    // 000000003364: D8EC6E80 7E000009
	s_waitcnt vmcnt(15)                                        // 00000000336C: BF8C0F7F
	s_waitcnt lgkmcnt(7)                                       // 000000003370: BF8CC77F
	v_mfma_i32_16x16x32_i8 v[176:179], a[64:65], v[112:113], 0 // 000000003374: D3D700B0 0A02E140
	s_waitcnt lgkmcnt(6)                                       // 00000000337C: BF8CC67F
	v_mfma_i32_16x16x32_i8 v[176:179], a[66:67], v[114:115], v[176:179]// 000000003380: D3D700B0 0EC2E542
	buffer_load_dwordx4 a[112:115], v34, s[20:23], 0 offen offset:1024// 000000003388: E05C1400 80857022
	s_waitcnt lgkmcnt(5)                                       // 000000003390: BF8CC57F
	v_mfma_i32_16x16x32_i8 v[176:179], a[68:69], v[116:117], v[176:179]// 000000003394: D3D700B0 0EC2E944
	s_waitcnt lgkmcnt(4)                                       // 00000000339C: BF8CC47F
	v_mfma_i32_16x16x32_i8 v[176:179], a[70:71], v[118:119], v[176:179]// 0000000033A0: D3D700B0 0EC2ED46
	s_waitcnt lgkmcnt(3)                                       // 0000000033A8: BF8CC37F
	v_mfma_i32_16x16x32_i8 v[176:179], a[72:73], v[120:121], v[176:179]// 0000000033AC: D3D700B0 0EC2F148
	s_waitcnt lgkmcnt(2)                                       // 0000000033B4: BF8CC27F
	v_mfma_i32_16x16x32_i8 v[176:179], a[74:75], v[122:123], v[176:179]// 0000000033B8: D3D700B0 0EC2F54A
	buffer_load_dwordx4 a[116:119], v35, s[20:23], 0 offen offset:1024// 0000000033C0: E05C1400 80857423
	s_waitcnt lgkmcnt(1)                                       // 0000000033C8: BF8CC17F
	v_mfma_i32_16x16x32_i8 v[176:179], a[76:77], v[124:125], v[176:179]// 0000000033CC: D3D700B0 0EC2F94C
	s_waitcnt lgkmcnt(0)                                       // 0000000033D4: BF8CC07F
	v_mfma_i32_16x16x32_i8 v[176:179], a[78:79], v[126:127], v[176:179]// 0000000033D8: D3D700B0 0EC2FD4E
	v_mfma_i32_16x16x32_i8 v[180:183], a[80:81], v[112:113], 0 // 0000000033E0: D3D700B4 0A02E150
	v_mfma_i32_16x16x32_i8 v[180:183], a[82:83], v[114:115], v[180:183]// 0000000033E8: D3D700B4 0ED2E552
	buffer_load_dwordx4 a[120:123], v36, s[20:23], 0 offen offset:1024// 0000000033F0: E05C1400 80857824
	v_mfma_i32_16x16x32_i8 v[180:183], a[84:85], v[116:117], v[180:183]// 0000000033F8: D3D700B4 0ED2E954
	v_mfma_i32_16x16x32_i8 v[180:183], a[86:87], v[118:119], v[180:183]// 000000003400: D3D700B4 0ED2ED56
	v_mfma_i32_16x16x32_i8 v[180:183], a[88:89], v[120:121], v[180:183]// 000000003408: D3D700B4 0ED2F158
	v_mfma_i32_16x16x32_i8 v[180:183], a[90:91], v[122:123], v[180:183]// 000000003410: D3D700B4 0ED2F55A
	buffer_load_dwordx4 a[124:127], v37, s[20:23], 0 offen offset:1024// 000000003418: E05C1400 80857C25
	v_mfma_i32_16x16x32_i8 v[180:183], a[92:93], v[124:125], v[180:183]// 000000003420: D3D700B4 0ED2F95C
	s_lshr_b32 s57, s70, 4                                     // 000000003428: 8F398446
	s_add_u32 s57, 48, s57                                     // 00000000342C: 803939B0
	v_mfma_i32_16x16x32_i8 v[180:183], a[94:95], v[126:127], v[180:183]// 000000003430: D3D700B4 0ED2FD5E
	s_cmp_ge_u32 s57, s73                                      // 000000003438: BF094939
	s_cselect_b32 s56, 0, s56                                  // 00000000343C: 85383880
	v_add_u32_e32 v1, s56, v1                                  // 000000003440: 68020238
	s_addk_i32 s70, 0x100                                      // 000000003444: B7460100
	s_cmp_lt_i32 s70, s71                                      // 000000003448: BF044746
	s_cbranch_scc0 label_0713                                  // 00000000344C: BF84027F
	s_waitcnt vmcnt(8) lgkmcnt(0)                              // 000000003450: BF8C0078
	v_mul_u32_u24_dpp v64, v16, v54 row_newbcast:0 row_mask:0xf bank_mask:0xf// 000000003454: 10806CFA FF015010
	v_mul_u32_u24_dpp v65, v16, v54 row_newbcast:4 row_mask:0xf bank_mask:0xf// 00000000345C: 10826CFA FF015410
	v_mul_u32_u24_dpp v66, v16, v54 row_newbcast:8 row_mask:0xf bank_mask:0xf// 000000003464: 10846CFA FF015810
	v_mul_u32_u24_dpp v67, v16, v54 row_newbcast:12 row_mask:0xf bank_mask:0xf// 00000000346C: 10866CFA FF015C10
	v_add_u32_e32 v22, v64, v5                                 // 000000003474: 682C0B40
	v_add_u32_e32 v23, v65, v5                                 // 000000003478: 682E0B41
	v_add_u32_e32 v24, v66, v5                                 // 00000000347C: 68300B42
	v_add_u32_e32 v25, v67, v5                                 // 000000003480: 68320B43
	v_mul_u32_u24_dpp v64, v16, v63 quad_perm:[0,0,0,0] row_mask:0xf bank_mask:0xf// 000000003484: 10807EFA FF000010
	v_add_u32_e32 v2, v64, v59                                 // 00000000348C: 68047740
	v_mul_u32_u24_dpp v64, v16, v63 quad_perm:[0,0,0,0] row_mask:0xf bank_mask:0xf// 000000003490: 10807EFA FF000010
	v_add_u32_e32 v55, v64, v60                                // 000000003498: 686E7940
	v_mfma_i32_16x16x32_i8 v[112:115], a[32:33], v[80:81], 0   // 00000000349C: D3D70070 0A02A120
	v_mfma_i32_16x16x32_i8 v[112:115], a[34:35], v[82:83], v[112:115]// 0000000034A4: D3D70070 0DC2A522
	buffer_load_dwordx4 a[0:3], v22, s[16:19], 0 offen         // 0000000034AC: E05C1000 80840016
	v_mfma_i32_16x16x32_i8 v[112:115], a[36:37], v[84:85], v[112:115]// 0000000034B4: D3D70070 0DC2A924
	v_mfma_i32_16x16x32_i8 v[112:115], a[38:39], v[86:87], v[112:115]// 0000000034BC: D3D70070 0DC2AD26
	buffer_load_dword v17, v1, s[24:27], 0 offen               // 0000000034C4: E0501000 80061101
	v_mfma_i32_16x16x32_i8 v[116:119], a[40:41], v[80:81], 0   // 0000000034CC: D3D70074 0A02A128
	v_mfma_i32_16x16x32_i8 v[116:119], a[42:43], v[82:83], v[116:119]// 0000000034D4: D3D70074 0DD2A52A
	buffer_load_dwordx4 a[4:7], v22, s[16:19], 0 offen offset:1024// 0000000034DC: E05C1400 80840416
	v_mfma_i32_16x16x32_i8 v[116:119], a[44:45], v[84:85], v[116:119]// 0000000034E4: D3D70074 0DD2A92C
	v_mfma_i32_16x16x32_i8 v[116:119], a[46:47], v[86:87], v[116:119]// 0000000034EC: D3D70074 0DD2AD2E
	v_mfma_i32_16x16x32_i8 v[120:123], a[48:49], v[80:81], 0   // 0000000034F4: D3D70078 0A02A130
	v_mfma_i32_16x16x32_i8 v[120:123], a[50:51], v[82:83], v[120:123]// 0000000034FC: D3D70078 0DE2A532
	buffer_load_dwordx4 a[8:11], v23, s[16:19], 0 offen        // 000000003504: E05C1000 80840817
	v_mfma_i32_16x16x32_i8 v[120:123], a[52:53], v[84:85], v[120:123]// 00000000350C: D3D70078 0DE2A934
	v_mfma_i32_16x16x32_i8 v[120:123], a[54:55], v[86:87], v[120:123]// 000000003514: D3D70078 0DE2AD36
	v_mfma_i32_16x16x32_i8 v[124:127], a[56:57], v[80:81], 0   // 00000000351C: D3D7007C 0A02A138
	v_mfma_i32_16x16x32_i8 v[124:127], a[58:59], v[82:83], v[124:127]// 000000003524: D3D7007C 0DF2A53A
	buffer_load_dwordx4 a[12:15], v23, s[16:19], 0 offen offset:1024// 00000000352C: E05C1400 80840C17
	v_mfma_i32_16x16x32_i8 v[124:127], a[60:61], v[84:85], v[124:127]// 000000003534: D3D7007C 0DF2A93C
	v_mfma_i32_16x16x32_i8 v[124:127], a[62:63], v[86:87], v[124:127]// 00000000353C: D3D7007C 0DF2AD3E
	buffer_load_dword v42, v2, s[32:35], 0 offen               // 000000003544: E0501000 80082A02
	v_mov_b32_dpp v64, v43 row_shr:4 row_mask:0xf bank_mask:0xf// 00000000354C: 7E8002FA FF01142B
	v_mov_b32_dpp v65, v43 row_shl:4 row_mask:0xf bank_mask:0xf// 000000003554: 7E8202FA FF01042B
	v_cndmask_b32_e64 v248, v43, v64, s[44:45]                 // 00000000355C: D10000F8 00B2812B
	v_cndmask_b32_e64 v249, v65, v43, s[44:45]                 // 000000003564: D10000F9 00B25741
	v_mov_b32_dpp v64, v248 row_shr:8 row_mask:0xf bank_mask:0xf// 00000000356C: 7E8002FA FF0118F8
	v_mov_b32_dpp v65, v248 row_shl:8 row_mask:0xf bank_mask:0xf// 000000003574: 7E8202FA FF0108F8
	v_mov_b32_dpp v66, v249 row_shr:8 row_mask:0xf bank_mask:0xf// 00000000357C: 7E8402FA FF0118F9
	v_mov_b32_dpp v67, v249 row_shl:8 row_mask:0xf bank_mask:0xf// 000000003584: 7E8602FA FF0108F9
	v_mov_b32_e32 v68, v248                                    // 00000000358C: 7E8803F8
	v_mov_b32_e32 v69, v249                                    // 000000003590: 7E8A03F9
	v_cndmask_b32_e64 v248, v68, v64, s[42:43]                 // 000000003594: D10000F8 00AA8144
	v_cndmask_b32_e64 v250, v68, v65, s[78:79]                 // 00000000359C: D10000FA 013A8344
	v_cndmask_b32_e64 v249, v69, v66, s[42:43]                 // 0000000035A4: D10000F9 00AA8545
	v_cndmask_b32_e64 v251, v69, v67, s[78:79]                 // 0000000035AC: D10000FB 013A8745
	v_mov_b32_dpp v64, v58 row_shr:4 row_mask:0xf bank_mask:0xf// 0000000035B4: 7E8002FA FF01143A
	v_mov_b32_dpp v65, v58 row_shl:4 row_mask:0xf bank_mask:0xf// 0000000035BC: 7E8202FA FF01043A
	v_cndmask_b32_e64 v252, v58, v64, s[44:45]                 // 0000000035C4: D10000FC 00B2813A
	v_cndmask_b32_e64 v253, v65, v58, s[44:45]                 // 0000000035CC: D10000FD 00B27541
	v_mov_b32_dpp v64, v252 row_shr:8 row_mask:0xf bank_mask:0xf// 0000000035D4: 7E8002FA FF0118FC
	v_mov_b32_dpp v65, v252 row_shl:8 row_mask:0xf bank_mask:0xf// 0000000035DC: 7E8202FA FF0108FC
	v_mov_b32_dpp v66, v253 row_shr:8 row_mask:0xf bank_mask:0xf// 0000000035E4: 7E8402FA FF0118FD
	v_mov_b32_dpp v67, v253 row_shl:8 row_mask:0xf bank_mask:0xf// 0000000035EC: 7E8602FA FF0108FD
	v_mov_b32_e32 v68, v252                                    // 0000000035F4: 7E8803FC
	v_mov_b32_e32 v69, v253                                    // 0000000035F8: 7E8A03FD
	v_cndmask_b32_e64 v252, v68, v64, s[42:43]                 // 0000000035FC: D10000FC 00AA8144
	v_cndmask_b32_e64 v254, v68, v65, s[78:79]                 // 000000003604: D10000FE 013A8344
	v_cndmask_b32_e64 v253, v69, v66, s[42:43]                 // 00000000360C: D10000FD 00AA8545
	v_cndmask_b32_e64 v255, v69, v67, s[78:79]                 // 000000003614: D10000FF 013A8745
	buffer_load_dword v57, v55, s[36:39], 0 offen              // 00000000361C: E0501000 80093937
	v_cvt_f32_i32_e32 v112, v112                               // 000000003624: 7EE00B70
	v_cvt_f32_i32_e32 v113, v113                               // 000000003628: 7EE20B71
	v_cvt_f32_i32_e32 v114, v114                               // 00000000362C: 7EE40B72
	v_cvt_f32_i32_e32 v115, v115                               // 000000003630: 7EE60B73
	v_cvt_f32_i32_e32 v116, v116                               // 000000003634: 7EE80B74
	v_cvt_f32_i32_e32 v117, v117                               // 000000003638: 7EEA0B75
	v_cvt_f32_i32_e32 v118, v118                               // 00000000363C: 7EEC0B76
	v_cvt_f32_i32_e32 v119, v119                               // 000000003640: 7EEE0B77
	v_cvt_f32_i32_e32 v120, v120                               // 000000003644: 7EF00B78
	v_cvt_f32_i32_e32 v121, v121                               // 000000003648: 7EF20B79
	v_cvt_f32_i32_e32 v122, v122                               // 00000000364C: 7EF40B7A
	v_cvt_f32_i32_e32 v123, v123                               // 000000003650: 7EF60B7B
	v_cvt_f32_i32_e32 v124, v124                               // 000000003654: 7EF80B7C
	v_cvt_f32_i32_e32 v125, v125                               // 000000003658: 7EFA0B7D
	v_cvt_f32_i32_e32 v126, v126                               // 00000000365C: 7EFC0B7E
	v_cvt_f32_i32_e32 v127, v127                               // 000000003660: 7EFE0B7F
	v_mul_f32_e32 v112, v18, v112                              // 000000003664: 0AE0E112
	v_mul_f32_e32 v113, v18, v113                              // 000000003668: 0AE2E312
	v_mul_f32_e32 v114, v18, v114                              // 00000000366C: 0AE4E512
	v_mul_f32_e32 v115, v18, v115                              // 000000003670: 0AE6E712
	v_mul_f32_e32 v116, v18, v116                              // 000000003674: 0AE8E912
	v_mul_f32_e32 v117, v18, v117                              // 000000003678: 0AEAEB12
	v_mul_f32_e32 v118, v18, v118                              // 00000000367C: 0AECED12
	v_mul_f32_e32 v119, v18, v119                              // 000000003680: 0AEEEF12
	v_mul_f32_e32 v120, v18, v120                              // 000000003684: 0AF0F112
	v_mul_f32_e32 v121, v18, v121                              // 000000003688: 0AF2F312
	v_mul_f32_e32 v122, v18, v122                              // 00000000368C: 0AF4F512
	v_mul_f32_e32 v123, v18, v123                              // 000000003690: 0AF6F712
	v_mul_f32_e32 v124, v18, v124                              // 000000003694: 0AF8F912
	v_mul_f32_e32 v125, v18, v125                              // 000000003698: 0AFAFB12
	v_mul_f32_e32 v126, v18, v126                              // 00000000369C: 0AFCFD12
	v_mul_f32_e32 v127, v18, v127                              // 0000000036A0: 0AFEFF12
	buffer_load_dwordx4 a[16:19], v24, s[16:19], 0 offen       // 0000000036A4: E05C1000 80841018
	v_mul_f32_dpp v112, v248, v112 quad_perm:[0,0,0,0] row_mask:0xf bank_mask:0xf// 0000000036AC: 0AE0E0FA FF0000F8
	v_mul_f32_dpp v113, v248, v113 quad_perm:[1,1,1,1] row_mask:0xf bank_mask:0xf// 0000000036B4: 0AE2E2FA FF0055F8
	v_mul_f32_dpp v114, v248, v114 quad_perm:[2,2,2,2] row_mask:0xf bank_mask:0xf// 0000000036BC: 0AE4E4FA FF00AAF8
	v_mul_f32_dpp v115, v248, v115 quad_perm:[3,3,3,3] row_mask:0xf bank_mask:0xf// 0000000036C4: 0AE6E6FA FF00FFF8
	v_mul_f32_dpp v116, v249, v116 quad_perm:[0,0,0,0] row_mask:0xf bank_mask:0xf// 0000000036CC: 0AE8E8FA FF0000F9
	v_mul_f32_dpp v117, v249, v117 quad_perm:[1,1,1,1] row_mask:0xf bank_mask:0xf// 0000000036D4: 0AEAEAFA FF0055F9
	v_mul_f32_dpp v118, v249, v118 quad_perm:[2,2,2,2] row_mask:0xf bank_mask:0xf// 0000000036DC: 0AECECFA FF00AAF9
	v_mul_f32_dpp v119, v249, v119 quad_perm:[3,3,3,3] row_mask:0xf bank_mask:0xf// 0000000036E4: 0AEEEEFA FF00FFF9
	v_mul_f32_dpp v120, v250, v120 quad_perm:[0,0,0,0] row_mask:0xf bank_mask:0xf// 0000000036EC: 0AF0F0FA FF0000FA
	v_mul_f32_dpp v121, v250, v121 quad_perm:[1,1,1,1] row_mask:0xf bank_mask:0xf// 0000000036F4: 0AF2F2FA FF0055FA
	v_mul_f32_dpp v122, v250, v122 quad_perm:[2,2,2,2] row_mask:0xf bank_mask:0xf// 0000000036FC: 0AF4F4FA FF00AAFA
	v_mul_f32_dpp v123, v250, v123 quad_perm:[3,3,3,3] row_mask:0xf bank_mask:0xf// 000000003704: 0AF6F6FA FF00FFFA
	v_mul_f32_dpp v124, v251, v124 quad_perm:[0,0,0,0] row_mask:0xf bank_mask:0xf// 00000000370C: 0AF8F8FA FF0000FB
	v_mul_f32_dpp v125, v251, v125 quad_perm:[1,1,1,1] row_mask:0xf bank_mask:0xf// 000000003714: 0AFAFAFA FF0055FB
	v_mul_f32_dpp v126, v251, v126 quad_perm:[2,2,2,2] row_mask:0xf bank_mask:0xf// 00000000371C: 0AFCFCFA FF00AAFB
	v_mul_f32_dpp v127, v251, v127 quad_perm:[3,3,3,3] row_mask:0xf bank_mask:0xf// 000000003724: 0AFEFEFA FF00FFFB
	buffer_load_dwordx4 a[20:23], v24, s[16:19], 0 offen offset:1024// 00000000372C: E05C1400 80841418
	v_mov_b32_e32 v48, v112                                    // 000000003734: 7E600370
	v_max3_f32 v48, v112, v113, v48                            // 000000003738: D1D30030 04C2E370
	v_max3_f32 v48, v114, v115, v48                            // 000000003740: D1D30030 04C2E772
	v_max3_f32 v48, v116, v117, v48                            // 000000003748: D1D30030 04C2EB74
	v_max3_f32 v48, v118, v119, v48                            // 000000003750: D1D30030 04C2EF76
	v_max3_f32 v48, v120, v121, v48                            // 000000003758: D1D30030 04C2F378
	v_max3_f32 v48, v122, v123, v48                            // 000000003760: D1D30030 04C2F77A
	v_max3_f32 v48, v124, v125, v48                            // 000000003768: D1D30030 04C2FB7C
	v_max3_f32 v48, v126, v127, v48                            // 000000003770: D1D30030 04C2FF7E
	ds_write_b32 v8, v48 offset:16896                          // 000000003778: D81A4200 00003008
	buffer_load_dwordx4 a[24:27], v25, s[16:19], 0 offen       // 000000003780: E05C1000 80841819
	v_mul_u32_u24_dpp v64, v16, v54 row_newbcast:1 row_mask:0xf bank_mask:0xf// 000000003788: 10806CFA FF015110
	v_mul_u32_u24_dpp v65, v16, v54 row_newbcast:5 row_mask:0xf bank_mask:0xf// 000000003790: 10826CFA FF015510
	v_mul_u32_u24_dpp v66, v16, v54 row_newbcast:9 row_mask:0xf bank_mask:0xf// 000000003798: 10846CFA FF015910
	v_mul_u32_u24_dpp v67, v16, v54 row_newbcast:13 row_mask:0xf bank_mask:0xf// 0000000037A0: 10866CFA FF015D10
	v_add_u32_e32 v30, v64, v6                                 // 0000000037A8: 683C0D40
	v_add_u32_e32 v31, v65, v6                                 // 0000000037AC: 683E0D41
	v_add_u32_e32 v32, v66, v6                                 // 0000000037B0: 68400D42
	v_add_u32_e32 v33, v67, v6                                 // 0000000037B4: 68420D43
	v_mul_f32_e32 v208, v49, v208                              // 0000000037B8: 0BA1A131
	v_mul_f32_e32 v209, v49, v209                              // 0000000037BC: 0BA3A331
	v_mul_f32_e32 v210, v49, v210                              // 0000000037C0: 0BA5A531
	v_mul_f32_e32 v211, v49, v211                              // 0000000037C4: 0BA7A731
	v_mul_f32_e32 v212, v49, v212                              // 0000000037C8: 0BA9A931
	v_mul_f32_e32 v213, v49, v213                              // 0000000037CC: 0BABAB31
	v_mul_f32_e32 v214, v49, v214                              // 0000000037D0: 0BADAD31
	v_mul_f32_e32 v215, v49, v215                              // 0000000037D4: 0BAFAF31
	s_waitcnt lgkmcnt(0)                                       // 0000000037D8: BF8CC07F
	s_barrier                                                  // 0000000037DC: BF8A0000
	ds_read_b32 v64, v7 offset:16896                           // 0000000037E0: D86C4200 40000007
	ds_read_b32 v65, v7 offset:16960                           // 0000000037E8: D86C4240 41000007
	ds_read_b32 v66, v7 offset:17024                           // 0000000037F0: D86C4280 42000007
	ds_read_b32 v67, v7 offset:17088                           // 0000000037F8: D86C42C0 43000007
	ds_read_b32 v68, v7 offset:17152                           // 000000003800: D86C4300 44000007
	ds_read_b32 v69, v7 offset:17216                           // 000000003808: D86C4340 45000007
	ds_read_b32 v70, v7 offset:17280                           // 000000003810: D86C4380 46000007
	ds_read_b32 v71, v7 offset:17344                           // 000000003818: D86C43C0 47000007
	ds_read_b32 v72, v7 offset:17408                           // 000000003820: D86C4400 48000007
	ds_read_b32 v73, v7 offset:17472                           // 000000003828: D86C4440 49000007
	ds_read_b32 v74, v7 offset:17536                           // 000000003830: D86C4480 4A000007
	ds_read_b32 v75, v7 offset:17600                           // 000000003838: D86C44C0 4B000007
	ds_read_b32 v76, v7 offset:17664                           // 000000003840: D86C4500 4C000007
	ds_read_b32 v77, v7 offset:17728                           // 000000003848: D86C4540 4D000007
	ds_read_b32 v78, v7 offset:17792                           // 000000003850: D86C4580 4E000007
	ds_read_b32 v79, v7 offset:17856                           // 000000003858: D86C45C0 4F000007
	buffer_load_dwordx4 a[28:31], v25, s[16:19], 0 offen offset:1024// 000000003860: E05C1400 80841C19
	v_cvt_f32_i32_e32 v176, v176                               // 000000003868: 7F600BB0
	v_cvt_f32_i32_e32 v177, v177                               // 00000000386C: 7F620BB1
	v_cvt_f32_i32_e32 v178, v178                               // 000000003870: 7F640BB2
	v_cvt_f32_i32_e32 v179, v179                               // 000000003874: 7F660BB3
	v_cvt_f32_i32_e32 v180, v180                               // 000000003878: 7F680BB4
	v_cvt_f32_i32_e32 v181, v181                               // 00000000387C: 7F6A0BB5
	v_cvt_f32_i32_e32 v182, v182                               // 000000003880: 7F6C0BB6
	v_cvt_f32_i32_e32 v183, v183                               // 000000003884: 7F6E0BB7
	v_mul_f32_e32 v176, v44, v176                              // 000000003888: 0B61612C
	v_mul_f32_e32 v177, v44, v177                              // 00000000388C: 0B63632C
	v_mul_f32_e32 v178, v44, v178                              // 000000003890: 0B65652C
	v_mul_f32_e32 v179, v44, v179                              // 000000003894: 0B67672C
	v_mul_f32_e32 v180, v44, v180                              // 000000003898: 0B69692C
	v_mul_f32_e32 v181, v44, v181                              // 00000000389C: 0B6B6B2C
	v_mul_f32_e32 v182, v44, v182                              // 0000000038A0: 0B6D6D2C
	v_mul_f32_e32 v183, v44, v183                              // 0000000038A4: 0B6F6F2C
	s_waitcnt lgkmcnt(0)                                       // 0000000038A8: BF8CC07F
	v_max3_f32 v48, v64, v65, v48                              // 0000000038AC: D1D30030 04C28340
	v_max3_f32 v48, v66, v67, v48                              // 0000000038B4: D1D30030 04C28742
	v_max3_f32 v48, v68, v69, v48                              // 0000000038BC: D1D30030 04C28B44
	v_max3_f32 v48, v70, v71, v48                              // 0000000038C4: D1D30030 04C28F46
	v_max3_f32 v48, v72, v73, v48                              // 0000000038CC: D1D30030 04C29348
	v_max3_f32 v48, v74, v75, v48                              // 0000000038D4: D1D30030 04C2974A
	v_max3_f32 v48, v76, v77, v48                              // 0000000038DC: D1D30030 04C29B4C
	v_max3_f32 v48, v78, v79, v48                              // 0000000038E4: D1D30030 04C29F4E
	buffer_load_dwordx4 a[64:67], v30, s[20:23], 0 offen       // 0000000038EC: E05C1000 8085401E
	v_mov_b32_e32 v64, 0xff800000                              // 0000000038F4: 7E8002FF FF800000
	v_cmp_eq_u32_e64 s[40:41], v64, v11                        // 0000000038FC: D0CA0028 00021740
	s_nop 1                                                    // 000000003904: BF800001
	v_max_f32_e32 v15, v48, v11                                // 000000003908: 161E1730
	v_mul_f32_e32 v53, s64, v15                                // 00000000390C: 0A6A1E40
	v_fma_f32 v112, v112, s64, -v53                            // 000000003910: D1CB0070 84D48170
	v_fma_f32 v113, v113, s64, -v53                            // 000000003918: D1CB0071 84D48171
	v_fma_f32 v114, v114, s64, -v53                            // 000000003920: D1CB0072 84D48172
	v_fma_f32 v115, v115, s64, -v53                            // 000000003928: D1CB0073 84D48173
	v_fma_f32 v116, v116, s64, -v53                            // 000000003930: D1CB0074 84D48174
	v_fma_f32 v117, v117, s64, -v53                            // 000000003938: D1CB0075 84D48175
	v_fma_f32 v118, v118, s64, -v53                            // 000000003940: D1CB0076 84D48176
	v_fma_f32 v119, v119, s64, -v53                            // 000000003948: D1CB0077 84D48177
	v_fma_f32 v120, v120, s64, -v53                            // 000000003950: D1CB0078 84D48178
	v_fma_f32 v121, v121, s64, -v53                            // 000000003958: D1CB0079 84D48179
	v_fma_f32 v122, v122, s64, -v53                            // 000000003960: D1CB007A 84D4817A
	v_fma_f32 v123, v123, s64, -v53                            // 000000003968: D1CB007B 84D4817B
	v_fma_f32 v124, v124, s64, -v53                            // 000000003970: D1CB007C 84D4817C
	v_fma_f32 v125, v125, s64, -v53                            // 000000003978: D1CB007D 84D4817D
	v_fma_f32 v126, v126, s64, -v53                            // 000000003980: D1CB007E 84D4817E
	v_fma_f32 v127, v127, s64, -v53                            // 000000003988: D1CB007F 84D4817F
	buffer_load_dwordx4 a[68:71], v31, s[20:23], 0 offen       // 000000003990: E05C1000 8085441F
	v_exp_f32_e32 v112, v112                                   // 000000003998: 7EE04170
	v_exp_f32_e32 v113, v113                                   // 00000000399C: 7EE24171
	v_exp_f32_e32 v114, v114                                   // 0000000039A0: 7EE44172
	v_exp_f32_e32 v115, v115                                   // 0000000039A4: 7EE64173
	v_exp_f32_e32 v116, v116                                   // 0000000039A8: 7EE84174
	v_exp_f32_e32 v117, v117                                   // 0000000039AC: 7EEA4175
	v_exp_f32_e32 v118, v118                                   // 0000000039B0: 7EEC4176
	v_exp_f32_e32 v119, v119                                   // 0000000039B4: 7EEE4177
	v_exp_f32_e32 v120, v120                                   // 0000000039B8: 7EF04178
	v_exp_f32_e32 v121, v121                                   // 0000000039BC: 7EF24179
	v_exp_f32_e32 v122, v122                                   // 0000000039C0: 7EF4417A
	v_exp_f32_e32 v123, v123                                   // 0000000039C4: 7EF6417B
	v_exp_f32_e32 v124, v124                                   // 0000000039C8: 7EF8417C
	v_exp_f32_e32 v125, v125                                   // 0000000039CC: 7EFA417D
	v_exp_f32_e32 v126, v126                                   // 0000000039D0: 7EFC417E
	v_exp_f32_e32 v127, v127                                   // 0000000039D4: 7EFE417F
	buffer_load_dwordx4 a[72:75], v32, s[20:23], 0 offen       // 0000000039D8: E05C1000 80854820
	v_mul_f32_dpp v240, v252, v112 quad_perm:[0,0,0,0] row_mask:0xf bank_mask:0xf// 0000000039E0: 0BE0E0FA FF0000FC
	v_mul_f32_dpp v241, v252, v113 quad_perm:[1,1,1,1] row_mask:0xf bank_mask:0xf// 0000000039E8: 0BE2E2FA FF0055FC
	v_mul_f32_dpp v242, v252, v114 quad_perm:[2,2,2,2] row_mask:0xf bank_mask:0xf// 0000000039F0: 0BE4E4FA FF00AAFC
	v_mul_f32_dpp v243, v252, v115 quad_perm:[3,3,3,3] row_mask:0xf bank_mask:0xf// 0000000039F8: 0BE6E6FA FF00FFFC
	v_mul_f32_dpp v244, v253, v116 quad_perm:[0,0,0,0] row_mask:0xf bank_mask:0xf// 000000003A00: 0BE8E8FA FF0000FD
	v_mul_f32_dpp v245, v253, v117 quad_perm:[1,1,1,1] row_mask:0xf bank_mask:0xf// 000000003A08: 0BEAEAFA FF0055FD
	v_mul_f32_dpp v246, v253, v118 quad_perm:[2,2,2,2] row_mask:0xf bank_mask:0xf// 000000003A10: 0BECECFA FF00AAFD
	v_mul_f32_dpp v247, v253, v119 quad_perm:[3,3,3,3] row_mask:0xf bank_mask:0xf// 000000003A18: 0BEEEEFA FF00FFFD
	v_mul_f32_dpp v248, v254, v120 quad_perm:[0,0,0,0] row_mask:0xf bank_mask:0xf// 000000003A20: 0BF0F0FA FF0000FE
	v_mul_f32_dpp v249, v254, v121 quad_perm:[1,1,1,1] row_mask:0xf bank_mask:0xf// 000000003A28: 0BF2F2FA FF0055FE
	v_mul_f32_dpp v250, v254, v122 quad_perm:[2,2,2,2] row_mask:0xf bank_mask:0xf// 000000003A30: 0BF4F4FA FF00AAFE
	v_mul_f32_dpp v251, v254, v123 quad_perm:[3,3,3,3] row_mask:0xf bank_mask:0xf// 000000003A38: 0BF6F6FA FF00FFFE
	v_mul_f32_dpp v252, v255, v124 quad_perm:[0,0,0,0] row_mask:0xf bank_mask:0xf// 000000003A40: 0BF8F8FA FF0000FF
	v_mul_f32_dpp v253, v255, v125 quad_perm:[1,1,1,1] row_mask:0xf bank_mask:0xf// 000000003A48: 0BFAFAFA FF0055FF
	v_mul_f32_dpp v254, v255, v126 quad_perm:[2,2,2,2] row_mask:0xf bank_mask:0xf// 000000003A50: 0BFCFCFA FF00AAFF
	v_mul_f32_dpp v255, v255, v127 quad_perm:[3,3,3,3] row_mask:0xf bank_mask:0xf// 000000003A58: 0BFEFEFA FF00FFFF
	v_mov_b32_e32 v48, 0x358637bd                              // 000000003A60: 7E6002FF 358637BD
	v_max3_f32 v48, |v240|, |v241|, v48                        // 000000003A68: D1D30330 04C3E3F0
	v_max3_f32 v48, |v242|, |v243|, v48                        // 000000003A70: D1D30330 04C3E7F2
	v_max3_f32 v48, |v244|, |v245|, v48                        // 000000003A78: D1D30330 04C3EBF4
	v_max3_f32 v48, |v246|, |v247|, v48                        // 000000003A80: D1D30330 04C3EFF6
	v_max3_f32 v48, |v248|, |v249|, v48                        // 000000003A88: D1D30330 04C3F3F8
	v_max3_f32 v48, |v250|, |v251|, v48                        // 000000003A90: D1D30330 04C3F7FA
	v_max3_f32 v48, |v252|, |v253|, v48                        // 000000003A98: D1D30330 04C3FBFC
	v_max3_f32 v48, |v254|, |v255|, v48                        // 000000003AA0: D1D30330 04C3FFFE
	buffer_load_dwordx4 a[76:79], v33, s[20:23], 0 offen       // 000000003AA8: E05C1000 80854C21
	ds_write_b32 v8, v48 offset:20992                          // 000000003AB0: D81A5200 00003008
	v_sub_f32_e32 v49, v11, v15                                // 000000003AB8: 04621F0B
	v_cndmask_b32_e64 v49, v49, 0, s[40:41]                    // 000000003ABC: D1000031 00A10131
	v_mov_b32_e32 v11, v15                                     // 000000003AC4: 7E16030F
	v_mul_f32_e32 v49, s64, v49                                // 000000003AC8: 0A626240
	v_exp_f32_e32 v49, v49                                     // 000000003ACC: 7E624131
	s_waitcnt lgkmcnt(0)                                       // 000000003AD0: BF8CC07F
	s_barrier                                                  // 000000003AD4: BF8A0000
	ds_read_b32 v64, v7 offset:20992                           // 000000003AD8: D86C5200 40000007
	ds_read_b32 v65, v7 offset:21056                           // 000000003AE0: D86C5240 41000007
	ds_read_b32 v66, v7 offset:21120                           // 000000003AE8: D86C5280 42000007
	ds_read_b32 v67, v7 offset:21184                           // 000000003AF0: D86C52C0 43000007
	ds_read_b32 v68, v7 offset:21248                           // 000000003AF8: D86C5300 44000007
	ds_read_b32 v69, v7 offset:21312                           // 000000003B00: D86C5340 45000007
	ds_read_b32 v70, v7 offset:21376                           // 000000003B08: D86C5380 46000007
	ds_read_b32 v71, v7 offset:21440                           // 000000003B10: D86C53C0 47000007
	ds_read_b32 v72, v7 offset:21504                           // 000000003B18: D86C5400 48000007
	ds_read_b32 v73, v7 offset:21568                           // 000000003B20: D86C5440 49000007
	ds_read_b32 v74, v7 offset:21632                           // 000000003B28: D86C5480 4A000007
	ds_read_b32 v75, v7 offset:21696                           // 000000003B30: D86C54C0 4B000007
	ds_read_b32 v76, v7 offset:21760                           // 000000003B38: D86C5500 4C000007
	ds_read_b32 v77, v7 offset:21824                           // 000000003B40: D86C5540 4D000007
	ds_read_b32 v78, v7 offset:21888                           // 000000003B48: D86C5580 4E000007
	ds_read_b32 v79, v7 offset:21952                           // 000000003B50: D86C55C0 4F000007
	v_mul_f32_e32 v38, v49, v38                                // 000000003B58: 0A4C4D31
	v_mov_b32_e32 v15, v112                                    // 000000003B5C: 7E1E0370
	v_add_f32_e32 v15, v113, v15                               // 000000003B60: 021E1F71
	v_add_f32_e32 v15, v114, v15                               // 000000003B64: 021E1F72
	v_add_f32_e32 v15, v115, v15                               // 000000003B68: 021E1F73
	v_add_f32_e32 v15, v116, v15                               // 000000003B6C: 021E1F74
	v_add_f32_e32 v15, v117, v15                               // 000000003B70: 021E1F75
	v_add_f32_e32 v15, v118, v15                               // 000000003B74: 021E1F76
	v_add_f32_e32 v15, v119, v15                               // 000000003B78: 021E1F77
	v_add_f32_e32 v15, v120, v15                               // 000000003B7C: 021E1F78
	v_add_f32_e32 v15, v121, v15                               // 000000003B80: 021E1F79
	v_add_f32_e32 v15, v122, v15                               // 000000003B84: 021E1F7A
	v_add_f32_e32 v15, v123, v15                               // 000000003B88: 021E1F7B
	v_add_f32_e32 v15, v124, v15                               // 000000003B8C: 021E1F7C
	v_add_f32_e32 v15, v125, v15                               // 000000003B90: 021E1F7D
	v_add_f32_e32 v15, v126, v15                               // 000000003B94: 021E1F7E
	v_add_f32_e32 v15, v127, v15                               // 000000003B98: 021E1F7F
	v_add_f32_e32 v38, v15, v38                                // 000000003B9C: 024C4D0F
	s_waitcnt lgkmcnt(0)                                       // 000000003BA0: BF8CC07F
	v_max3_f32 v48, |v64|, |v65|, v48                          // 000000003BA4: D1D30330 04C28340
	v_max3_f32 v48, |v66|, |v67|, v48                          // 000000003BAC: D1D30330 04C28742
	v_max3_f32 v48, |v68|, |v69|, v48                          // 000000003BB4: D1D30330 04C28B44
	v_max3_f32 v48, |v70|, |v71|, v48                          // 000000003BBC: D1D30330 04C28F46
	v_max3_f32 v48, |v72|, |v73|, v48                          // 000000003BC4: D1D30330 04C29348
	v_max3_f32 v48, |v74|, |v75|, v48                          // 000000003BCC: D1D30330 04C2974A
	v_max3_f32 v48, |v76|, |v77|, v48                          // 000000003BD4: D1D30330 04C29B4C
	v_max3_f32 v48, |v78|, |v79|, v48                          // 000000003BDC: D1D30330 04C29F4E
	s_nop 2                                                    // 000000003BE4: BF800002
	v_rcp_f32_e32 v48, v48                                     // 000000003BE8: 7E604530
	s_nop 1                                                    // 000000003BEC: BF800001
	v_mul_f32_e32 v48, 0x42fe0000, v48                         // 000000003BF0: 0A6060FF 42FE0000
	v_mul_f32_e32 v112, v48, v240                              // 000000003BF8: 0AE1E130
	v_mul_f32_e32 v113, v48, v241                              // 000000003BFC: 0AE3E330
	v_mul_f32_e32 v114, v48, v242                              // 000000003C00: 0AE5E530
	v_mul_f32_e32 v115, v48, v243                              // 000000003C04: 0AE7E730
	v_mul_f32_e32 v116, v48, v244                              // 000000003C08: 0AE9E930
	v_mul_f32_e32 v117, v48, v245                              // 000000003C0C: 0AEBEB30
	v_mul_f32_e32 v118, v48, v246                              // 000000003C10: 0AEDED30
	v_mul_f32_e32 v119, v48, v247                              // 000000003C14: 0AEFEF30
	v_mul_f32_e32 v120, v48, v248                              // 000000003C18: 0AF1F130
	v_mul_f32_e32 v121, v48, v249                              // 000000003C1C: 0AF3F330
	v_mul_f32_e32 v122, v48, v250                              // 000000003C20: 0AF5F530
	v_mul_f32_e32 v123, v48, v251                              // 000000003C24: 0AF7F730
	v_mul_f32_e32 v124, v48, v252                              // 000000003C28: 0AF9F930
	v_mul_f32_e32 v125, v48, v253                              // 000000003C2C: 0AFBFB30
	v_mul_f32_e32 v126, v48, v254                              // 000000003C30: 0AFDFD30
	v_mul_f32_e32 v127, v48, v255                              // 000000003C34: 0AFFFF30
	v_cvt_i32_f32_e32 v112, v112                               // 000000003C38: 7EE01170
	v_cvt_i32_f32_e32 v113, v113                               // 000000003C3C: 7EE21171
	v_cvt_i32_f32_e32 v114, v114                               // 000000003C40: 7EE41172
	v_cvt_i32_f32_e32 v115, v115                               // 000000003C44: 7EE61173
	v_cvt_i32_f32_e32 v116, v116                               // 000000003C48: 7EE81174
	v_cvt_i32_f32_e32 v117, v117                               // 000000003C4C: 7EEA1175
	v_cvt_i32_f32_e32 v118, v118                               // 000000003C50: 7EEC1176
	v_cvt_i32_f32_e32 v119, v119                               // 000000003C54: 7EEE1177
	v_cvt_i32_f32_e32 v120, v120                               // 000000003C58: 7EF01178
	v_cvt_i32_f32_e32 v121, v121                               // 000000003C5C: 7EF21179
	v_cvt_i32_f32_e32 v122, v122                               // 000000003C60: 7EF4117A
	v_cvt_i32_f32_e32 v123, v123                               // 000000003C64: 7EF6117B
	v_cvt_i32_f32_e32 v124, v124                               // 000000003C68: 7EF8117C
	v_cvt_i32_f32_e32 v125, v125                               // 000000003C6C: 7EFA117D
	v_cvt_i32_f32_e32 v126, v126                               // 000000003C70: 7EFC117E
	v_cvt_i32_f32_e32 v127, v127                               // 000000003C74: 7EFE117F
	v_perm_b32 v112, v113, v112, s53                           // 000000003C78: D1ED0070 00D6E171
	v_perm_b32 v112, v114, v112, s54                           // 000000003C80: D1ED0070 00DAE172
	v_perm_b32 v112, v115, v112, s55                           // 000000003C88: D1ED0070 00DEE173
	v_perm_b32 v113, v117, v116, s53                           // 000000003C90: D1ED0071 00D6E975
	v_perm_b32 v113, v118, v113, s54                           // 000000003C98: D1ED0071 00DAE376
	v_perm_b32 v113, v119, v113, s55                           // 000000003CA0: D1ED0071 00DEE377
	v_perm_b32 v114, v121, v120, s53                           // 000000003CA8: D1ED0072 00D6F179
	v_perm_b32 v114, v122, v114, s54                           // 000000003CB0: D1ED0072 00DAE57A
	v_perm_b32 v114, v123, v114, s55                           // 000000003CB8: D1ED0072 00DEE57B
	v_perm_b32 v115, v125, v124, s53                           // 000000003CC0: D1ED0073 00D6F97D
	v_perm_b32 v115, v126, v115, s54                           // 000000003CC8: D1ED0073 00DAE77E
	v_perm_b32 v115, v127, v115, s55                           // 000000003CD0: D1ED0073 00DEE77F
	ds_write_b32 v10, v112 offset:25088                        // 000000003CD8: D81A6200 0000700A
	ds_write_b32 v10, v113 offset:26112                        // 000000003CE0: D81A6600 0000710A
	ds_write_b32 v10, v114 offset:27136                        // 000000003CE8: D81A6A00 0000720A
	ds_write_b32 v10, v115 offset:28160                        // 000000003CF0: D81A6E00 0000730A
	v_add_f32_e32 v208, v208, v176                             // 000000003CF8: 03A161D0
	v_add_f32_e32 v209, v209, v177                             // 000000003CFC: 03A363D1
	v_add_f32_e32 v210, v210, v178                             // 000000003D00: 03A565D2
	v_add_f32_e32 v211, v211, v179                             // 000000003D04: 03A767D3
	v_add_f32_e32 v212, v212, v180                             // 000000003D08: 03A969D4
	v_add_f32_e32 v213, v213, v181                             // 000000003D0C: 03AB6BD5
	v_add_f32_e32 v214, v214, v182                             // 000000003D10: 03AD6DD6
	v_add_f32_e32 v215, v215, v183                             // 000000003D14: 03AF6FD7
	v_rcp_f32_e32 v44, v48                                     // 000000003D18: 7E584530
	s_waitcnt lgkmcnt(0)                                       // 000000003D1C: BF8CC07F
	s_barrier                                                  // 000000003D20: BF8A0000
	ds_read_b64 v[112:113], v9 offset:25088                    // 000000003D24: D8EC6200 70000009
	ds_read_b64 v[114:115], v9 offset:25216                    // 000000003D2C: D8EC6280 72000009
	ds_read_b64 v[116:117], v9 offset:26112                    // 000000003D34: D8EC6600 74000009
	ds_read_b64 v[118:119], v9 offset:26240                    // 000000003D3C: D8EC6680 76000009
	ds_read_b64 v[120:121], v9 offset:27136                    // 000000003D44: D8EC6A00 78000009
	ds_read_b64 v[122:123], v9 offset:27264                    // 000000003D4C: D8EC6A80 7A000009
	ds_read_b64 v[124:125], v9 offset:28160                    // 000000003D54: D8EC6E00 7C000009
	ds_read_b64 v[126:127], v9 offset:28288                    // 000000003D5C: D8EC6E80 7E000009
	s_waitcnt vmcnt(15)                                        // 000000003D64: BF8C0F7F
	s_waitcnt lgkmcnt(7)                                       // 000000003D68: BF8CC77F
	v_mfma_i32_16x16x32_i8 v[176:179], a[96:97], v[112:113], 0 // 000000003D6C: D3D700B0 0A02E160
	s_waitcnt lgkmcnt(6)                                       // 000000003D74: BF8CC67F
	v_mfma_i32_16x16x32_i8 v[176:179], a[98:99], v[114:115], v[176:179]// 000000003D78: D3D700B0 0EC2E562
	buffer_load_dwordx4 a[80:83], v30, s[20:23], 0 offen offset:1024// 000000003D80: E05C1400 8085501E
	s_waitcnt lgkmcnt(5)                                       // 000000003D88: BF8CC57F
	v_mfma_i32_16x16x32_i8 v[176:179], a[100:101], v[116:117], v[176:179]// 000000003D8C: D3D700B0 0EC2E964
	s_waitcnt lgkmcnt(4)                                       // 000000003D94: BF8CC47F
	v_mfma_i32_16x16x32_i8 v[176:179], a[102:103], v[118:119], v[176:179]// 000000003D98: D3D700B0 0EC2ED66
	s_waitcnt lgkmcnt(3)                                       // 000000003DA0: BF8CC37F
	v_mfma_i32_16x16x32_i8 v[176:179], a[104:105], v[120:121], v[176:179]// 000000003DA4: D3D700B0 0EC2F168
	s_waitcnt lgkmcnt(2)                                       // 000000003DAC: BF8CC27F
	v_mfma_i32_16x16x32_i8 v[176:179], a[106:107], v[122:123], v[176:179]// 000000003DB0: D3D700B0 0EC2F56A
	buffer_load_dwordx4 a[84:87], v31, s[20:23], 0 offen offset:1024// 000000003DB8: E05C1400 8085541F
	s_waitcnt lgkmcnt(1)                                       // 000000003DC0: BF8CC17F
	v_mfma_i32_16x16x32_i8 v[176:179], a[108:109], v[124:125], v[176:179]// 000000003DC4: D3D700B0 0EC2F96C
	s_waitcnt lgkmcnt(0)                                       // 000000003DCC: BF8CC07F
	v_mfma_i32_16x16x32_i8 v[176:179], a[110:111], v[126:127], v[176:179]// 000000003DD0: D3D700B0 0EC2FD6E
	v_mfma_i32_16x16x32_i8 v[180:183], a[112:113], v[112:113], 0// 000000003DD8: D3D700B4 0A02E170
	v_mfma_i32_16x16x32_i8 v[180:183], a[114:115], v[114:115], v[180:183]// 000000003DE0: D3D700B4 0ED2E572
	buffer_load_dwordx4 a[88:91], v32, s[20:23], 0 offen offset:1024// 000000003DE8: E05C1400 80855820
	v_mfma_i32_16x16x32_i8 v[180:183], a[116:117], v[116:117], v[180:183]// 000000003DF0: D3D700B4 0ED2E974
	v_mfma_i32_16x16x32_i8 v[180:183], a[118:119], v[118:119], v[180:183]// 000000003DF8: D3D700B4 0ED2ED76
	v_mfma_i32_16x16x32_i8 v[180:183], a[120:121], v[120:121], v[180:183]// 000000003E00: D3D700B4 0ED2F178
	v_mfma_i32_16x16x32_i8 v[180:183], a[122:123], v[122:123], v[180:183]// 000000003E08: D3D700B4 0ED2F57A
	buffer_load_dwordx4 a[92:95], v33, s[20:23], 0 offen offset:1024// 000000003E10: E05C1400 80855C21
	v_mfma_i32_16x16x32_i8 v[180:183], a[124:125], v[124:125], v[180:183]// 000000003E18: D3D700B4 0ED2F97C
	s_lshr_b32 s57, s70, 4                                     // 000000003E20: 8F398446
	s_add_u32 s57, 48, s57                                     // 000000003E24: 803939B0
	v_mfma_i32_16x16x32_i8 v[180:183], a[126:127], v[126:127], v[180:183]// 000000003E28: D3D700B4 0ED2FD7E
	s_cmp_ge_u32 s57, s73                                      // 000000003E30: BF094939
	s_cselect_b32 s56, 0, s56                                  // 000000003E34: 85383880
	v_add_u32_e32 v1, s56, v1                                  // 000000003E38: 68020238
	s_addk_i32 s70, 0x100                                      // 000000003E3C: B7460100
	s_cmp_lt_i32 s70, s71                                      // 000000003E40: BF044746
	s_cbranch_scc0 label_0713                                  // 000000003E44: BF840001
	s_branch label_0216                                        // 000000003E48: BF82FB03

0000000000003e4c <label_0713>:
	s_nop 0                                                    // 000000003E4C: BF800000
	s_nop 0                                                    // 000000003E50: BF800000
	s_branch label_0C13                                        // 000000003E54: BF8204FD

0000000000003e58 <label_0716>:
	s_waitcnt vmcnt(8) lgkmcnt(0)                              // 000000003E58: BF8C0078
	v_mul_u32_u24_dpp v64, v17, v54 row_newbcast:0 row_mask:0xf bank_mask:0xf// 000000003E5C: 10806CFA FF015011
	v_mul_u32_u24_dpp v65, v17, v54 row_newbcast:4 row_mask:0xf bank_mask:0xf// 000000003E64: 10826CFA FF015411
	v_mul_u32_u24_dpp v66, v17, v54 row_newbcast:8 row_mask:0xf bank_mask:0xf// 000000003E6C: 10846CFA FF015811
	v_mul_u32_u24_dpp v67, v17, v54 row_newbcast:12 row_mask:0xf bank_mask:0xf// 000000003E74: 10866CFA FF015C11
	v_add_u32_e32 v26, v64, v5                                 // 000000003E7C: 68340B40
	v_add_u32_e32 v27, v65, v5                                 // 000000003E80: 68360B41
	v_add_u32_e32 v28, v66, v5                                 // 000000003E84: 68380B42
	v_add_u32_e32 v29, v67, v5                                 // 000000003E88: 683A0B43
	v_mul_u32_u24_dpp v64, v17, v63 quad_perm:[0,0,0,0] row_mask:0xf bank_mask:0xf// 000000003E8C: 10807EFA FF000011
	v_add_u32_e32 v3, v64, v59                                 // 000000003E94: 68067740
	v_mul_u32_u24_dpp v64, v17, v63 quad_perm:[0,0,0,0] row_mask:0xf bank_mask:0xf// 000000003E98: 10807EFA FF000011
	v_add_u32_e32 v56, v64, v60                                // 000000003EA0: 68707940
	v_mfma_i32_16x16x32_i8 v[112:115], a[0:1], v[80:81], 0     // 000000003EA4: D3D70070 0A02A100
	buffer_load_dwordx4 a[32:35], v26, s[16:19], 0 offen       // 000000003EAC: E05C1000 8084201A
	v_mfma_i32_16x16x32_i8 v[112:115], a[2:3], v[82:83], v[112:115]// 000000003EB4: D3D70070 0DC2A502
	v_mfma_i32_16x16x32_i8 v[112:115], a[4:5], v[84:85], v[112:115]// 000000003EBC: D3D70070 0DC2A904
	buffer_load_dword v16, v1, s[24:27], 0 offen               // 000000003EC4: E0501000 80061001
	v_mfma_i32_16x16x32_i8 v[112:115], a[6:7], v[86:87], v[112:115]// 000000003ECC: D3D70070 0DC2AD06
	v_mfma_i32_16x16x32_i8 v[116:119], a[8:9], v[80:81], 0     // 000000003ED4: D3D70074 0A02A108
	buffer_load_dwordx4 a[36:39], v26, s[16:19], 0 offen offset:1024// 000000003EDC: E05C1400 8084241A
	v_mfma_i32_16x16x32_i8 v[116:119], a[10:11], v[82:83], v[116:119]// 000000003EE4: D3D70074 0DD2A50A
	v_mfma_i32_16x16x32_i8 v[116:119], a[12:13], v[84:85], v[116:119]// 000000003EEC: D3D70074 0DD2A90C
	v_mfma_i32_16x16x32_i8 v[116:119], a[14:15], v[86:87], v[116:119]// 000000003EF4: D3D70074 0DD2AD0E
	v_mfma_i32_16x16x32_i8 v[120:123], a[16:17], v[80:81], 0   // 000000003EFC: D3D70078 0A02A110
	buffer_load_dwordx4 a[40:43], v27, s[16:19], 0 offen       // 000000003F04: E05C1000 8084281B
	v_mfma_i32_16x16x32_i8 v[120:123], a[18:19], v[82:83], v[120:123]// 000000003F0C: D3D70078 0DE2A512
	v_mfma_i32_16x16x32_i8 v[120:123], a[20:21], v[84:85], v[120:123]// 000000003F14: D3D70078 0DE2A914
	v_mfma_i32_16x16x32_i8 v[120:123], a[22:23], v[86:87], v[120:123]// 000000003F1C: D3D70078 0DE2AD16
	v_mfma_i32_16x16x32_i8 v[124:127], a[24:25], v[80:81], 0   // 000000003F24: D3D7007C 0A02A118
	buffer_load_dwordx4 a[44:47], v27, s[16:19], 0 offen offset:1024// 000000003F2C: E05C1400 80842C1B
	v_mfma_i32_16x16x32_i8 v[124:127], a[26:27], v[82:83], v[124:127]// 000000003F34: D3D7007C 0DF2A51A
	v_mfma_i32_16x16x32_i8 v[124:127], a[28:29], v[84:85], v[124:127]// 000000003F3C: D3D7007C 0DF2A91C
	v_mfma_i32_16x16x32_i8 v[124:127], a[30:31], v[86:87], v[124:127]// 000000003F44: D3D7007C 0DF2AD1E
	buffer_load_dword v43, v3, s[32:35], 0 offen               // 000000003F4C: E0501000 80082B03
	v_mov_b32_dpp v64, v42 row_shr:4 row_mask:0xf bank_mask:0xf// 000000003F54: 7E8002FA FF01142A
	v_mov_b32_dpp v65, v42 row_shl:4 row_mask:0xf bank_mask:0xf// 000000003F5C: 7E8202FA FF01042A
	v_cndmask_b32_e64 v248, v42, v64, s[44:45]                 // 000000003F64: D10000F8 00B2812A
	v_cndmask_b32_e64 v249, v65, v42, s[44:45]                 // 000000003F6C: D10000F9 00B25541
	v_mov_b32_dpp v64, v248 row_shr:8 row_mask:0xf bank_mask:0xf// 000000003F74: 7E8002FA FF0118F8
	v_mov_b32_dpp v65, v248 row_shl:8 row_mask:0xf bank_mask:0xf// 000000003F7C: 7E8202FA FF0108F8
	v_mov_b32_dpp v66, v249 row_shr:8 row_mask:0xf bank_mask:0xf// 000000003F84: 7E8402FA FF0118F9
	v_mov_b32_dpp v67, v249 row_shl:8 row_mask:0xf bank_mask:0xf// 000000003F8C: 7E8602FA FF0108F9
	v_mov_b32_e32 v68, v248                                    // 000000003F94: 7E8803F8
	v_mov_b32_e32 v69, v249                                    // 000000003F98: 7E8A03F9
	v_cndmask_b32_e64 v248, v68, v64, s[42:43]                 // 000000003F9C: D10000F8 00AA8144
	v_cndmask_b32_e64 v250, v68, v65, s[78:79]                 // 000000003FA4: D10000FA 013A8344
	v_cndmask_b32_e64 v249, v69, v66, s[42:43]                 // 000000003FAC: D10000F9 00AA8545
	v_cndmask_b32_e64 v251, v69, v67, s[78:79]                 // 000000003FB4: D10000FB 013A8745
	v_mov_b32_dpp v64, v57 row_shr:4 row_mask:0xf bank_mask:0xf// 000000003FBC: 7E8002FA FF011439
	v_mov_b32_dpp v65, v57 row_shl:4 row_mask:0xf bank_mask:0xf// 000000003FC4: 7E8202FA FF010439
	v_cndmask_b32_e64 v252, v57, v64, s[44:45]                 // 000000003FCC: D10000FC 00B28139
	v_cndmask_b32_e64 v253, v65, v57, s[44:45]                 // 000000003FD4: D10000FD 00B27341
	v_mov_b32_dpp v64, v252 row_shr:8 row_mask:0xf bank_mask:0xf// 000000003FDC: 7E8002FA FF0118FC
	v_mov_b32_dpp v65, v252 row_shl:8 row_mask:0xf bank_mask:0xf// 000000003FE4: 7E8202FA FF0108FC
	v_mov_b32_dpp v66, v253 row_shr:8 row_mask:0xf bank_mask:0xf// 000000003FEC: 7E8402FA FF0118FD
	v_mov_b32_dpp v67, v253 row_shl:8 row_mask:0xf bank_mask:0xf// 000000003FF4: 7E8602FA FF0108FD
	v_mov_b32_e32 v68, v252                                    // 000000003FFC: 7E8803FC
	v_mov_b32_e32 v69, v253                                    // 000000004000: 7E8A03FD
	v_cndmask_b32_e64 v252, v68, v64, s[42:43]                 // 000000004004: D10000FC 00AA8144
	v_cndmask_b32_e64 v254, v68, v65, s[78:79]                 // 00000000400C: D10000FE 013A8344
	v_cndmask_b32_e64 v253, v69, v66, s[42:43]                 // 000000004014: D10000FD 00AA8545
	v_cndmask_b32_e64 v255, v69, v67, s[78:79]                 // 00000000401C: D10000FF 013A8745
	buffer_load_dword v58, v56, s[36:39], 0 offen              // 000000004024: E0501000 80093A38
	v_cvt_f32_i32_e32 v112, v112                               // 00000000402C: 7EE00B70
	v_cvt_f32_i32_e32 v113, v113                               // 000000004030: 7EE20B71
	v_cvt_f32_i32_e32 v114, v114                               // 000000004034: 7EE40B72
	v_cvt_f32_i32_e32 v115, v115                               // 000000004038: 7EE60B73
	v_cvt_f32_i32_e32 v116, v116                               // 00000000403C: 7EE80B74
	v_cvt_f32_i32_e32 v117, v117                               // 000000004040: 7EEA0B75
	v_cvt_f32_i32_e32 v118, v118                               // 000000004044: 7EEC0B76
	v_cvt_f32_i32_e32 v119, v119                               // 000000004048: 7EEE0B77
	v_cvt_f32_i32_e32 v120, v120                               // 00000000404C: 7EF00B78
	v_cvt_f32_i32_e32 v121, v121                               // 000000004050: 7EF20B79
	v_cvt_f32_i32_e32 v122, v122                               // 000000004054: 7EF40B7A
	v_cvt_f32_i32_e32 v123, v123                               // 000000004058: 7EF60B7B
	v_cvt_f32_i32_e32 v124, v124                               // 00000000405C: 7EF80B7C
	v_cvt_f32_i32_e32 v125, v125                               // 000000004060: 7EFA0B7D
	v_cvt_f32_i32_e32 v126, v126                               // 000000004064: 7EFC0B7E
	v_cvt_f32_i32_e32 v127, v127                               // 000000004068: 7EFE0B7F
	v_mul_f32_e32 v112, v18, v112                              // 00000000406C: 0AE0E112
	v_mul_f32_e32 v113, v18, v113                              // 000000004070: 0AE2E312
	v_mul_f32_e32 v114, v18, v114                              // 000000004074: 0AE4E512
	v_mul_f32_e32 v115, v18, v115                              // 000000004078: 0AE6E712
	v_mul_f32_e32 v116, v18, v116                              // 00000000407C: 0AE8E912
	v_mul_f32_e32 v117, v18, v117                              // 000000004080: 0AEAEB12
	v_mul_f32_e32 v118, v18, v118                              // 000000004084: 0AECED12
	v_mul_f32_e32 v119, v18, v119                              // 000000004088: 0AEEEF12
	v_mul_f32_e32 v120, v18, v120                              // 00000000408C: 0AF0F112
	v_mul_f32_e32 v121, v18, v121                              // 000000004090: 0AF2F312
	v_mul_f32_e32 v122, v18, v122                              // 000000004094: 0AF4F512
	v_mul_f32_e32 v123, v18, v123                              // 000000004098: 0AF6F712
	v_mul_f32_e32 v124, v18, v124                              // 00000000409C: 0AF8F912
	v_mul_f32_e32 v125, v18, v125                              // 0000000040A0: 0AFAFB12
	v_mul_f32_e32 v126, v18, v126                              // 0000000040A4: 0AFCFD12
	v_mul_f32_e32 v127, v18, v127                              // 0000000040A8: 0AFEFF12
	buffer_load_dwordx4 a[48:51], v28, s[16:19], 0 offen       // 0000000040AC: E05C1000 8084301C
	v_mul_f32_dpp v112, v248, v112 quad_perm:[0,0,0,0] row_mask:0xf bank_mask:0xf// 0000000040B4: 0AE0E0FA FF0000F8
	v_mul_f32_dpp v113, v248, v113 quad_perm:[1,1,1,1] row_mask:0xf bank_mask:0xf// 0000000040BC: 0AE2E2FA FF0055F8
	v_mul_f32_dpp v114, v248, v114 quad_perm:[2,2,2,2] row_mask:0xf bank_mask:0xf// 0000000040C4: 0AE4E4FA FF00AAF8
	v_mul_f32_dpp v115, v248, v115 quad_perm:[3,3,3,3] row_mask:0xf bank_mask:0xf// 0000000040CC: 0AE6E6FA FF00FFF8
	v_mul_f32_dpp v116, v249, v116 quad_perm:[0,0,0,0] row_mask:0xf bank_mask:0xf// 0000000040D4: 0AE8E8FA FF0000F9
	v_mul_f32_dpp v117, v249, v117 quad_perm:[1,1,1,1] row_mask:0xf bank_mask:0xf// 0000000040DC: 0AEAEAFA FF0055F9
	v_mul_f32_dpp v118, v249, v118 quad_perm:[2,2,2,2] row_mask:0xf bank_mask:0xf// 0000000040E4: 0AECECFA FF00AAF9
	v_mul_f32_dpp v119, v249, v119 quad_perm:[3,3,3,3] row_mask:0xf bank_mask:0xf// 0000000040EC: 0AEEEEFA FF00FFF9
	v_mul_f32_dpp v120, v250, v120 quad_perm:[0,0,0,0] row_mask:0xf bank_mask:0xf// 0000000040F4: 0AF0F0FA FF0000FA
	v_mul_f32_dpp v121, v250, v121 quad_perm:[1,1,1,1] row_mask:0xf bank_mask:0xf// 0000000040FC: 0AF2F2FA FF0055FA
	v_mul_f32_dpp v122, v250, v122 quad_perm:[2,2,2,2] row_mask:0xf bank_mask:0xf// 000000004104: 0AF4F4FA FF00AAFA
	v_mul_f32_dpp v123, v250, v123 quad_perm:[3,3,3,3] row_mask:0xf bank_mask:0xf// 00000000410C: 0AF6F6FA FF00FFFA
	v_mul_f32_dpp v124, v251, v124 quad_perm:[0,0,0,0] row_mask:0xf bank_mask:0xf// 000000004114: 0AF8F8FA FF0000FB
	v_mul_f32_dpp v125, v251, v125 quad_perm:[1,1,1,1] row_mask:0xf bank_mask:0xf// 00000000411C: 0AFAFAFA FF0055FB
	v_mul_f32_dpp v126, v251, v126 quad_perm:[2,2,2,2] row_mask:0xf bank_mask:0xf// 000000004124: 0AFCFCFA FF00AAFB
	v_mul_f32_dpp v127, v251, v127 quad_perm:[3,3,3,3] row_mask:0xf bank_mask:0xf// 00000000412C: 0AFEFEFA FF00FFFB
	buffer_load_dwordx4 a[52:55], v28, s[16:19], 0 offen offset:1024// 000000004134: E05C1400 8084341C
	v_mov_b32_e32 v48, v112                                    // 00000000413C: 7E600370
	v_max3_f32 v48, v112, v113, v48                            // 000000004140: D1D30030 04C2E370
	v_max3_f32 v48, v114, v115, v48                            // 000000004148: D1D30030 04C2E772
	v_max3_f32 v48, v116, v117, v48                            // 000000004150: D1D30030 04C2EB74
	v_max3_f32 v48, v118, v119, v48                            // 000000004158: D1D30030 04C2EF76
	v_max3_f32 v48, v120, v121, v48                            // 000000004160: D1D30030 04C2F378
	v_max3_f32 v48, v122, v123, v48                            // 000000004168: D1D30030 04C2F77A
	v_max3_f32 v48, v124, v125, v48                            // 000000004170: D1D30030 04C2FB7C
	v_max3_f32 v48, v126, v127, v48                            // 000000004178: D1D30030 04C2FF7E
	ds_write_b32 v8, v48 offset:16896                          // 000000004180: D81A4200 00003008
	buffer_load_dwordx4 a[56:59], v29, s[16:19], 0 offen       // 000000004188: E05C1000 8084381D
	v_mul_u32_u24_dpp v64, v17, v54 row_newbcast:1 row_mask:0xf bank_mask:0xf// 000000004190: 10806CFA FF015111
	v_mul_u32_u24_dpp v65, v17, v54 row_newbcast:5 row_mask:0xf bank_mask:0xf// 000000004198: 10826CFA FF015511
	v_mul_u32_u24_dpp v66, v17, v54 row_newbcast:9 row_mask:0xf bank_mask:0xf// 0000000041A0: 10846CFA FF015911
	v_mul_u32_u24_dpp v67, v17, v54 row_newbcast:13 row_mask:0xf bank_mask:0xf// 0000000041A8: 10866CFA FF015D11
	v_add_u32_e32 v34, v64, v6                                 // 0000000041B0: 68440D40
	v_add_u32_e32 v35, v65, v6                                 // 0000000041B4: 68460D41
	v_add_u32_e32 v36, v66, v6                                 // 0000000041B8: 68480D42
	v_add_u32_e32 v37, v67, v6                                 // 0000000041BC: 684A0D43
	v_mul_f32_e32 v208, v49, v208                              // 0000000041C0: 0BA1A131
	v_mul_f32_e32 v209, v49, v209                              // 0000000041C4: 0BA3A331
	v_mul_f32_e32 v210, v49, v210                              // 0000000041C8: 0BA5A531
	v_mul_f32_e32 v211, v49, v211                              // 0000000041CC: 0BA7A731
	v_mul_f32_e32 v212, v49, v212                              // 0000000041D0: 0BA9A931
	v_mul_f32_e32 v213, v49, v213                              // 0000000041D4: 0BABAB31
	v_mul_f32_e32 v214, v49, v214                              // 0000000041D8: 0BADAD31
	v_mul_f32_e32 v215, v49, v215                              // 0000000041DC: 0BAFAF31
	s_waitcnt lgkmcnt(0)                                       // 0000000041E0: BF8CC07F
	s_barrier                                                  // 0000000041E4: BF8A0000
	ds_read_b32 v64, v7 offset:16896                           // 0000000041E8: D86C4200 40000007
	ds_read_b32 v65, v7 offset:16960                           // 0000000041F0: D86C4240 41000007
	ds_read_b32 v66, v7 offset:17024                           // 0000000041F8: D86C4280 42000007
	ds_read_b32 v67, v7 offset:17088                           // 000000004200: D86C42C0 43000007
	ds_read_b32 v68, v7 offset:17152                           // 000000004208: D86C4300 44000007
	ds_read_b32 v69, v7 offset:17216                           // 000000004210: D86C4340 45000007
	ds_read_b32 v70, v7 offset:17280                           // 000000004218: D86C4380 46000007
	ds_read_b32 v71, v7 offset:17344                           // 000000004220: D86C43C0 47000007
	ds_read_b32 v72, v7 offset:17408                           // 000000004228: D86C4400 48000007
	ds_read_b32 v73, v7 offset:17472                           // 000000004230: D86C4440 49000007
	ds_read_b32 v74, v7 offset:17536                           // 000000004238: D86C4480 4A000007
	ds_read_b32 v75, v7 offset:17600                           // 000000004240: D86C44C0 4B000007
	ds_read_b32 v76, v7 offset:17664                           // 000000004248: D86C4500 4C000007
	ds_read_b32 v77, v7 offset:17728                           // 000000004250: D86C4540 4D000007
	ds_read_b32 v78, v7 offset:17792                           // 000000004258: D86C4580 4E000007
	ds_read_b32 v79, v7 offset:17856                           // 000000004260: D86C45C0 4F000007
	buffer_load_dwordx4 a[60:63], v29, s[16:19], 0 offen offset:1024// 000000004268: E05C1400 80843C1D
	v_cvt_f32_i32_e32 v176, v176                               // 000000004270: 7F600BB0
	v_cvt_f32_i32_e32 v177, v177                               // 000000004274: 7F620BB1
	v_cvt_f32_i32_e32 v178, v178                               // 000000004278: 7F640BB2
	v_cvt_f32_i32_e32 v179, v179                               // 00000000427C: 7F660BB3
	v_cvt_f32_i32_e32 v180, v180                               // 000000004280: 7F680BB4
	v_cvt_f32_i32_e32 v181, v181                               // 000000004284: 7F6A0BB5
	v_cvt_f32_i32_e32 v182, v182                               // 000000004288: 7F6C0BB6
	v_cvt_f32_i32_e32 v183, v183                               // 00000000428C: 7F6E0BB7
	v_mul_f32_e32 v176, v44, v176                              // 000000004290: 0B61612C
	v_mul_f32_e32 v177, v44, v177                              // 000000004294: 0B63632C
	v_mul_f32_e32 v178, v44, v178                              // 000000004298: 0B65652C
	v_mul_f32_e32 v179, v44, v179                              // 00000000429C: 0B67672C
	v_mul_f32_e32 v180, v44, v180                              // 0000000042A0: 0B69692C
	v_mul_f32_e32 v181, v44, v181                              // 0000000042A4: 0B6B6B2C
	v_mul_f32_e32 v182, v44, v182                              // 0000000042A8: 0B6D6D2C
	v_mul_f32_e32 v183, v44, v183                              // 0000000042AC: 0B6F6F2C
	s_waitcnt lgkmcnt(0)                                       // 0000000042B0: BF8CC07F
	v_max3_f32 v48, v64, v65, v48                              // 0000000042B4: D1D30030 04C28340
	v_max3_f32 v48, v66, v67, v48                              // 0000000042BC: D1D30030 04C28742
	v_max3_f32 v48, v68, v69, v48                              // 0000000042C4: D1D30030 04C28B44
	v_max3_f32 v48, v70, v71, v48                              // 0000000042CC: D1D30030 04C28F46
	v_max3_f32 v48, v72, v73, v48                              // 0000000042D4: D1D30030 04C29348
	v_max3_f32 v48, v74, v75, v48                              // 0000000042DC: D1D30030 04C2974A
	v_max3_f32 v48, v76, v77, v48                              // 0000000042E4: D1D30030 04C29B4C
	v_max3_f32 v48, v78, v79, v48                              // 0000000042EC: D1D30030 04C29F4E
	buffer_load_dwordx4 a[96:99], v34, s[20:23], 0 offen       // 0000000042F4: E05C1000 80856022
	v_mov_b32_e32 v64, 0xff800000                              // 0000000042FC: 7E8002FF FF800000
	v_cmp_eq_u32_e64 s[40:41], v64, v11                        // 000000004304: D0CA0028 00021740
	s_nop 1                                                    // 00000000430C: BF800001
	v_max_f32_e32 v15, v48, v11                                // 000000004310: 161E1730
	v_mul_f32_e32 v53, s64, v15                                // 000000004314: 0A6A1E40
	v_fma_f32 v112, v112, s64, -v53                            // 000000004318: D1CB0070 84D48170
	v_fma_f32 v113, v113, s64, -v53                            // 000000004320: D1CB0071 84D48171
	v_fma_f32 v114, v114, s64, -v53                            // 000000004328: D1CB0072 84D48172
	v_fma_f32 v115, v115, s64, -v53                            // 000000004330: D1CB0073 84D48173
	v_fma_f32 v116, v116, s64, -v53                            // 000000004338: D1CB0074 84D48174
	v_fma_f32 v117, v117, s64, -v53                            // 000000004340: D1CB0075 84D48175
	v_fma_f32 v118, v118, s64, -v53                            // 000000004348: D1CB0076 84D48176
	v_fma_f32 v119, v119, s64, -v53                            // 000000004350: D1CB0077 84D48177
	v_fma_f32 v120, v120, s64, -v53                            // 000000004358: D1CB0078 84D48178
	v_fma_f32 v121, v121, s64, -v53                            // 000000004360: D1CB0079 84D48179
	v_fma_f32 v122, v122, s64, -v53                            // 000000004368: D1CB007A 84D4817A
	v_fma_f32 v123, v123, s64, -v53                            // 000000004370: D1CB007B 84D4817B
	v_fma_f32 v124, v124, s64, -v53                            // 000000004378: D1CB007C 84D4817C
	v_fma_f32 v125, v125, s64, -v53                            // 000000004380: D1CB007D 84D4817D
	v_fma_f32 v126, v126, s64, -v53                            // 000000004388: D1CB007E 84D4817E
	v_fma_f32 v127, v127, s64, -v53                            // 000000004390: D1CB007F 84D4817F
	buffer_load_dwordx4 a[100:103], v35, s[20:23], 0 offen     // 000000004398: E05C1000 80856423
	v_exp_f32_e32 v112, v112                                   // 0000000043A0: 7EE04170
	v_exp_f32_e32 v113, v113                                   // 0000000043A4: 7EE24171
	v_exp_f32_e32 v114, v114                                   // 0000000043A8: 7EE44172
	v_exp_f32_e32 v115, v115                                   // 0000000043AC: 7EE64173
	v_exp_f32_e32 v116, v116                                   // 0000000043B0: 7EE84174
	v_exp_f32_e32 v117, v117                                   // 0000000043B4: 7EEA4175
	v_exp_f32_e32 v118, v118                                   // 0000000043B8: 7EEC4176
	v_exp_f32_e32 v119, v119                                   // 0000000043BC: 7EEE4177
	v_exp_f32_e32 v120, v120                                   // 0000000043C0: 7EF04178
	v_exp_f32_e32 v121, v121                                   // 0000000043C4: 7EF24179
	v_exp_f32_e32 v122, v122                                   // 0000000043C8: 7EF4417A
	v_exp_f32_e32 v123, v123                                   // 0000000043CC: 7EF6417B
	v_exp_f32_e32 v124, v124                                   // 0000000043D0: 7EF8417C
	v_exp_f32_e32 v125, v125                                   // 0000000043D4: 7EFA417D
	v_exp_f32_e32 v126, v126                                   // 0000000043D8: 7EFC417E
	v_exp_f32_e32 v127, v127                                   // 0000000043DC: 7EFE417F
	buffer_load_dwordx4 a[104:107], v36, s[20:23], 0 offen     // 0000000043E0: E05C1000 80856824
	v_mul_f32_dpp v240, v252, v112 quad_perm:[0,0,0,0] row_mask:0xf bank_mask:0xf// 0000000043E8: 0BE0E0FA FF0000FC
	v_mul_f32_dpp v241, v252, v113 quad_perm:[1,1,1,1] row_mask:0xf bank_mask:0xf// 0000000043F0: 0BE2E2FA FF0055FC
	v_mul_f32_dpp v242, v252, v114 quad_perm:[2,2,2,2] row_mask:0xf bank_mask:0xf// 0000000043F8: 0BE4E4FA FF00AAFC
	v_mul_f32_dpp v243, v252, v115 quad_perm:[3,3,3,3] row_mask:0xf bank_mask:0xf// 000000004400: 0BE6E6FA FF00FFFC
	v_mul_f32_dpp v244, v253, v116 quad_perm:[0,0,0,0] row_mask:0xf bank_mask:0xf// 000000004408: 0BE8E8FA FF0000FD
	v_mul_f32_dpp v245, v253, v117 quad_perm:[1,1,1,1] row_mask:0xf bank_mask:0xf// 000000004410: 0BEAEAFA FF0055FD
	v_mul_f32_dpp v246, v253, v118 quad_perm:[2,2,2,2] row_mask:0xf bank_mask:0xf// 000000004418: 0BECECFA FF00AAFD
	v_mul_f32_dpp v247, v253, v119 quad_perm:[3,3,3,3] row_mask:0xf bank_mask:0xf// 000000004420: 0BEEEEFA FF00FFFD
	v_mul_f32_dpp v248, v254, v120 quad_perm:[0,0,0,0] row_mask:0xf bank_mask:0xf// 000000004428: 0BF0F0FA FF0000FE
	v_mul_f32_dpp v249, v254, v121 quad_perm:[1,1,1,1] row_mask:0xf bank_mask:0xf// 000000004430: 0BF2F2FA FF0055FE
	v_mul_f32_dpp v250, v254, v122 quad_perm:[2,2,2,2] row_mask:0xf bank_mask:0xf// 000000004438: 0BF4F4FA FF00AAFE
	v_mul_f32_dpp v251, v254, v123 quad_perm:[3,3,3,3] row_mask:0xf bank_mask:0xf// 000000004440: 0BF6F6FA FF00FFFE
	v_mul_f32_dpp v252, v255, v124 quad_perm:[0,0,0,0] row_mask:0xf bank_mask:0xf// 000000004448: 0BF8F8FA FF0000FF
	v_mul_f32_dpp v253, v255, v125 quad_perm:[1,1,1,1] row_mask:0xf bank_mask:0xf// 000000004450: 0BFAFAFA FF0055FF
	v_mul_f32_dpp v254, v255, v126 quad_perm:[2,2,2,2] row_mask:0xf bank_mask:0xf// 000000004458: 0BFCFCFA FF00AAFF
	v_mul_f32_dpp v255, v255, v127 quad_perm:[3,3,3,3] row_mask:0xf bank_mask:0xf// 000000004460: 0BFEFEFA FF00FFFF
	v_mov_b32_e32 v48, 0x358637bd                              // 000000004468: 7E6002FF 358637BD
	v_max3_f32 v48, |v240|, |v241|, v48                        // 000000004470: D1D30330 04C3E3F0
	v_max3_f32 v48, |v242|, |v243|, v48                        // 000000004478: D1D30330 04C3E7F2
	v_max3_f32 v48, |v244|, |v245|, v48                        // 000000004480: D1D30330 04C3EBF4
	v_max3_f32 v48, |v246|, |v247|, v48                        // 000000004488: D1D30330 04C3EFF6
	v_max3_f32 v48, |v248|, |v249|, v48                        // 000000004490: D1D30330 04C3F3F8
	v_max3_f32 v48, |v250|, |v251|, v48                        // 000000004498: D1D30330 04C3F7FA
	v_max3_f32 v48, |v252|, |v253|, v48                        // 0000000044A0: D1D30330 04C3FBFC
	v_max3_f32 v48, |v254|, |v255|, v48                        // 0000000044A8: D1D30330 04C3FFFE
	buffer_load_dwordx4 a[108:111], v37, s[20:23], 0 offen     // 0000000044B0: E05C1000 80856C25
	ds_write_b32 v8, v48 offset:20992                          // 0000000044B8: D81A5200 00003008
	v_sub_f32_e32 v49, v11, v15                                // 0000000044C0: 04621F0B
	v_cndmask_b32_e64 v49, v49, 0, s[40:41]                    // 0000000044C4: D1000031 00A10131
	v_mov_b32_e32 v11, v15                                     // 0000000044CC: 7E16030F
	v_mul_f32_e32 v49, s64, v49                                // 0000000044D0: 0A626240
	v_exp_f32_e32 v49, v49                                     // 0000000044D4: 7E624131
	s_waitcnt lgkmcnt(0)                                       // 0000000044D8: BF8CC07F
	s_barrier                                                  // 0000000044DC: BF8A0000
	ds_read_b32 v64, v7 offset:20992                           // 0000000044E0: D86C5200 40000007
	ds_read_b32 v65, v7 offset:21056                           // 0000000044E8: D86C5240 41000007
	ds_read_b32 v66, v7 offset:21120                           // 0000000044F0: D86C5280 42000007
	ds_read_b32 v67, v7 offset:21184                           // 0000000044F8: D86C52C0 43000007
	ds_read_b32 v68, v7 offset:21248                           // 000000004500: D86C5300 44000007
	ds_read_b32 v69, v7 offset:21312                           // 000000004508: D86C5340 45000007
	ds_read_b32 v70, v7 offset:21376                           // 000000004510: D86C5380 46000007
	ds_read_b32 v71, v7 offset:21440                           // 000000004518: D86C53C0 47000007
	ds_read_b32 v72, v7 offset:21504                           // 000000004520: D86C5400 48000007
	ds_read_b32 v73, v7 offset:21568                           // 000000004528: D86C5440 49000007
	ds_read_b32 v74, v7 offset:21632                           // 000000004530: D86C5480 4A000007
	ds_read_b32 v75, v7 offset:21696                           // 000000004538: D86C54C0 4B000007
	ds_read_b32 v76, v7 offset:21760                           // 000000004540: D86C5500 4C000007
	ds_read_b32 v77, v7 offset:21824                           // 000000004548: D86C5540 4D000007
	ds_read_b32 v78, v7 offset:21888                           // 000000004550: D86C5580 4E000007
	ds_read_b32 v79, v7 offset:21952                           // 000000004558: D86C55C0 4F000007
	v_mul_f32_e32 v38, v49, v38                                // 000000004560: 0A4C4D31
	v_mov_b32_e32 v15, v112                                    // 000000004564: 7E1E0370
	v_add_f32_e32 v15, v113, v15                               // 000000004568: 021E1F71
	v_add_f32_e32 v15, v114, v15                               // 00000000456C: 021E1F72
	v_add_f32_e32 v15, v115, v15                               // 000000004570: 021E1F73
	v_add_f32_e32 v15, v116, v15                               // 000000004574: 021E1F74
	v_add_f32_e32 v15, v117, v15                               // 000000004578: 021E1F75
	v_add_f32_e32 v15, v118, v15                               // 00000000457C: 021E1F76
	v_add_f32_e32 v15, v119, v15                               // 000000004580: 021E1F77
	v_add_f32_e32 v15, v120, v15                               // 000000004584: 021E1F78
	v_add_f32_e32 v15, v121, v15                               // 000000004588: 021E1F79
	v_add_f32_e32 v15, v122, v15                               // 00000000458C: 021E1F7A
	v_add_f32_e32 v15, v123, v15                               // 000000004590: 021E1F7B
	v_add_f32_e32 v15, v124, v15                               // 000000004594: 021E1F7C
	v_add_f32_e32 v15, v125, v15                               // 000000004598: 021E1F7D
	v_add_f32_e32 v15, v126, v15                               // 00000000459C: 021E1F7E
	v_add_f32_e32 v15, v127, v15                               // 0000000045A0: 021E1F7F
	v_add_f32_e32 v38, v15, v38                                // 0000000045A4: 024C4D0F
	s_waitcnt lgkmcnt(0)                                       // 0000000045A8: BF8CC07F
	v_max3_f32 v48, |v64|, |v65|, v48                          // 0000000045AC: D1D30330 04C28340
	v_max3_f32 v48, |v66|, |v67|, v48                          // 0000000045B4: D1D30330 04C28742
	v_max3_f32 v48, |v68|, |v69|, v48                          // 0000000045BC: D1D30330 04C28B44
	v_max3_f32 v48, |v70|, |v71|, v48                          // 0000000045C4: D1D30330 04C28F46
	v_max3_f32 v48, |v72|, |v73|, v48                          // 0000000045CC: D1D30330 04C29348
	v_max3_f32 v48, |v74|, |v75|, v48                          // 0000000045D4: D1D30330 04C2974A
	v_max3_f32 v48, |v76|, |v77|, v48                          // 0000000045DC: D1D30330 04C29B4C
	v_max3_f32 v48, |v78|, |v79|, v48                          // 0000000045E4: D1D30330 04C29F4E
	s_nop 2                                                    // 0000000045EC: BF800002
	v_rcp_f32_e32 v48, v48                                     // 0000000045F0: 7E604530
	s_nop 1                                                    // 0000000045F4: BF800001
	v_mul_f32_e32 v48, 0x42fe0000, v48                         // 0000000045F8: 0A6060FF 42FE0000
	v_mul_f32_e32 v112, v48, v240                              // 000000004600: 0AE1E130
	v_mul_f32_e32 v113, v48, v241                              // 000000004604: 0AE3E330
	v_mul_f32_e32 v114, v48, v242                              // 000000004608: 0AE5E530
	v_mul_f32_e32 v115, v48, v243                              // 00000000460C: 0AE7E730
	v_mul_f32_e32 v116, v48, v244                              // 000000004610: 0AE9E930
	v_mul_f32_e32 v117, v48, v245                              // 000000004614: 0AEBEB30
	v_mul_f32_e32 v118, v48, v246                              // 000000004618: 0AEDED30
	v_mul_f32_e32 v119, v48, v247                              // 00000000461C: 0AEFEF30
	v_mul_f32_e32 v120, v48, v248                              // 000000004620: 0AF1F130
	v_mul_f32_e32 v121, v48, v249                              // 000000004624: 0AF3F330
	v_mul_f32_e32 v122, v48, v250                              // 000000004628: 0AF5F530
	v_mul_f32_e32 v123, v48, v251                              // 00000000462C: 0AF7F730
	v_mul_f32_e32 v124, v48, v252                              // 000000004630: 0AF9F930
	v_mul_f32_e32 v125, v48, v253                              // 000000004634: 0AFBFB30
	v_mul_f32_e32 v126, v48, v254                              // 000000004638: 0AFDFD30
	v_mul_f32_e32 v127, v48, v255                              // 00000000463C: 0AFFFF30
	v_cvt_i32_f32_e32 v112, v112                               // 000000004640: 7EE01170
	v_cvt_i32_f32_e32 v113, v113                               // 000000004644: 7EE21171
	v_cvt_i32_f32_e32 v114, v114                               // 000000004648: 7EE41172
	v_cvt_i32_f32_e32 v115, v115                               // 00000000464C: 7EE61173
	v_cvt_i32_f32_e32 v116, v116                               // 000000004650: 7EE81174
	v_cvt_i32_f32_e32 v117, v117                               // 000000004654: 7EEA1175
	v_cvt_i32_f32_e32 v118, v118                               // 000000004658: 7EEC1176
	v_cvt_i32_f32_e32 v119, v119                               // 00000000465C: 7EEE1177
	v_cvt_i32_f32_e32 v120, v120                               // 000000004660: 7EF01178
	v_cvt_i32_f32_e32 v121, v121                               // 000000004664: 7EF21179
	v_cvt_i32_f32_e32 v122, v122                               // 000000004668: 7EF4117A
	v_cvt_i32_f32_e32 v123, v123                               // 00000000466C: 7EF6117B
	v_cvt_i32_f32_e32 v124, v124                               // 000000004670: 7EF8117C
	v_cvt_i32_f32_e32 v125, v125                               // 000000004674: 7EFA117D
	v_cvt_i32_f32_e32 v126, v126                               // 000000004678: 7EFC117E
	v_cvt_i32_f32_e32 v127, v127                               // 00000000467C: 7EFE117F
	v_perm_b32 v112, v113, v112, s53                           // 000000004680: D1ED0070 00D6E171
	v_perm_b32 v112, v114, v112, s54                           // 000000004688: D1ED0070 00DAE172
	v_perm_b32 v112, v115, v112, s55                           // 000000004690: D1ED0070 00DEE173
	v_perm_b32 v113, v117, v116, s53                           // 000000004698: D1ED0071 00D6E975
	v_perm_b32 v113, v118, v113, s54                           // 0000000046A0: D1ED0071 00DAE376
	v_perm_b32 v113, v119, v113, s55                           // 0000000046A8: D1ED0071 00DEE377
	v_perm_b32 v114, v121, v120, s53                           // 0000000046B0: D1ED0072 00D6F179
	v_perm_b32 v114, v122, v114, s54                           // 0000000046B8: D1ED0072 00DAE57A
	v_perm_b32 v114, v123, v114, s55                           // 0000000046C0: D1ED0072 00DEE57B
	v_perm_b32 v115, v125, v124, s53                           // 0000000046C8: D1ED0073 00D6F97D
	v_perm_b32 v115, v126, v115, s54                           // 0000000046D0: D1ED0073 00DAE77E
	v_perm_b32 v115, v127, v115, s55                           // 0000000046D8: D1ED0073 00DEE77F
	ds_write_b32 v10, v112 offset:25088                        // 0000000046E0: D81A6200 0000700A
	ds_write_b32 v10, v113 offset:26112                        // 0000000046E8: D81A6600 0000710A
	ds_write_b32 v10, v114 offset:27136                        // 0000000046F0: D81A6A00 0000720A
	ds_write_b32 v10, v115 offset:28160                        // 0000000046F8: D81A6E00 0000730A
	v_add_f32_e32 v208, v208, v176                             // 000000004700: 03A161D0
	v_add_f32_e32 v209, v209, v177                             // 000000004704: 03A363D1
	v_add_f32_e32 v210, v210, v178                             // 000000004708: 03A565D2
	v_add_f32_e32 v211, v211, v179                             // 00000000470C: 03A767D3
	v_add_f32_e32 v212, v212, v180                             // 000000004710: 03A969D4
	v_add_f32_e32 v213, v213, v181                             // 000000004714: 03AB6BD5
	v_add_f32_e32 v214, v214, v182                             // 000000004718: 03AD6DD6
	v_add_f32_e32 v215, v215, v183                             // 00000000471C: 03AF6FD7
	v_rcp_f32_e32 v44, v48                                     // 000000004720: 7E584530
	s_waitcnt lgkmcnt(0)                                       // 000000004724: BF8CC07F
	s_barrier                                                  // 000000004728: BF8A0000
	ds_read_b64 v[112:113], v9 offset:25088                    // 00000000472C: D8EC6200 70000009
	ds_read_b64 v[114:115], v9 offset:25216                    // 000000004734: D8EC6280 72000009
	ds_read_b64 v[116:117], v9 offset:26112                    // 00000000473C: D8EC6600 74000009
	ds_read_b64 v[118:119], v9 offset:26240                    // 000000004744: D8EC6680 76000009
	ds_read_b64 v[120:121], v9 offset:27136                    // 00000000474C: D8EC6A00 78000009
	ds_read_b64 v[122:123], v9 offset:27264                    // 000000004754: D8EC6A80 7A000009
	ds_read_b64 v[124:125], v9 offset:28160                    // 00000000475C: D8EC6E00 7C000009
	ds_read_b64 v[126:127], v9 offset:28288                    // 000000004764: D8EC6E80 7E000009
	s_waitcnt vmcnt(15)                                        // 00000000476C: BF8C0F7F
	s_waitcnt lgkmcnt(7)                                       // 000000004770: BF8CC77F
	v_mfma_i32_16x16x32_i8 v[176:179], a[64:65], v[112:113], 0 // 000000004774: D3D700B0 0A02E140
	buffer_load_dwordx4 a[112:115], v34, s[20:23], 0 offen offset:1024// 00000000477C: E05C1400 80857022
	s_waitcnt lgkmcnt(6)                                       // 000000004784: BF8CC67F
	v_mfma_i32_16x16x32_i8 v[176:179], a[66:67], v[114:115], v[176:179]// 000000004788: D3D700B0 0EC2E542
	s_waitcnt lgkmcnt(5)                                       // 000000004790: BF8CC57F
	v_mfma_i32_16x16x32_i8 v[176:179], a[68:69], v[116:117], v[176:179]// 000000004794: D3D700B0 0EC2E944
	s_waitcnt lgkmcnt(4)                                       // 00000000479C: BF8CC47F
	v_mfma_i32_16x16x32_i8 v[176:179], a[70:71], v[118:119], v[176:179]// 0000000047A0: D3D700B0 0EC2ED46
	s_waitcnt lgkmcnt(3)                                       // 0000000047A8: BF8CC37F
	v_mfma_i32_16x16x32_i8 v[176:179], a[72:73], v[120:121], v[176:179]// 0000000047AC: D3D700B0 0EC2F148
	buffer_load_dwordx4 a[116:119], v35, s[20:23], 0 offen offset:1024// 0000000047B4: E05C1400 80857423
	s_waitcnt lgkmcnt(2)                                       // 0000000047BC: BF8CC27F
	v_mfma_i32_16x16x32_i8 v[176:179], a[74:75], v[122:123], v[176:179]// 0000000047C0: D3D700B0 0EC2F54A
	s_waitcnt lgkmcnt(1)                                       // 0000000047C8: BF8CC17F
	v_mfma_i32_16x16x32_i8 v[176:179], a[76:77], v[124:125], v[176:179]// 0000000047CC: D3D700B0 0EC2F94C
	s_waitcnt lgkmcnt(0)                                       // 0000000047D4: BF8CC07F
	v_mfma_i32_16x16x32_i8 v[176:179], a[78:79], v[126:127], v[176:179]// 0000000047D8: D3D700B0 0EC2FD4E
	v_mfma_i32_16x16x32_i8 v[180:183], a[80:81], v[112:113], 0 // 0000000047E0: D3D700B4 0A02E150
	buffer_load_dwordx4 a[120:123], v36, s[20:23], 0 offen offset:1024// 0000000047E8: E05C1400 80857824
	v_mfma_i32_16x16x32_i8 v[180:183], a[82:83], v[114:115], v[180:183]// 0000000047F0: D3D700B4 0ED2E552
	v_mfma_i32_16x16x32_i8 v[180:183], a[84:85], v[116:117], v[180:183]// 0000000047F8: D3D700B4 0ED2E954
	v_mfma_i32_16x16x32_i8 v[180:183], a[86:87], v[118:119], v[180:183]// 000000004800: D3D700B4 0ED2ED56
	v_mfma_i32_16x16x32_i8 v[180:183], a[88:89], v[120:121], v[180:183]// 000000004808: D3D700B4 0ED2F158
	buffer_load_dwordx4 a[124:127], v37, s[20:23], 0 offen offset:1024// 000000004810: E05C1400 80857C25
	v_mfma_i32_16x16x32_i8 v[180:183], a[90:91], v[122:123], v[180:183]// 000000004818: D3D700B4 0ED2F55A
	v_mfma_i32_16x16x32_i8 v[180:183], a[92:93], v[124:125], v[180:183]// 000000004820: D3D700B4 0ED2F95C
	s_lshr_b32 s57, s70, 4                                     // 000000004828: 8F398446
	s_add_u32 s57, 48, s57                                     // 00000000482C: 803939B0
	v_mfma_i32_16x16x32_i8 v[180:183], a[94:95], v[126:127], v[180:183]// 000000004830: D3D700B4 0ED2FD5E
	s_cmp_ge_u32 s57, s73                                      // 000000004838: BF094939
	s_cselect_b32 s56, 0, s56                                  // 00000000483C: 85383880
	v_add_u32_e32 v1, s56, v1                                  // 000000004840: 68020238
	s_addk_i32 s70, 0x100                                      // 000000004844: B7460100
	s_cmp_lt_i32 s70, s71                                      // 000000004848: BF044746
	s_cbranch_scc0 label_0713                                  // 00000000484C: BF84FD7F
	s_waitcnt vmcnt(8) lgkmcnt(0)                              // 000000004850: BF8C0078
	v_mul_u32_u24_dpp v64, v16, v54 row_newbcast:0 row_mask:0xf bank_mask:0xf// 000000004854: 10806CFA FF015010
	v_mul_u32_u24_dpp v65, v16, v54 row_newbcast:4 row_mask:0xf bank_mask:0xf// 00000000485C: 10826CFA FF015410
	v_mul_u32_u24_dpp v66, v16, v54 row_newbcast:8 row_mask:0xf bank_mask:0xf// 000000004864: 10846CFA FF015810
	v_mul_u32_u24_dpp v67, v16, v54 row_newbcast:12 row_mask:0xf bank_mask:0xf// 00000000486C: 10866CFA FF015C10
	v_add_u32_e32 v22, v64, v5                                 // 000000004874: 682C0B40
	v_add_u32_e32 v23, v65, v5                                 // 000000004878: 682E0B41
	v_add_u32_e32 v24, v66, v5                                 // 00000000487C: 68300B42
	v_add_u32_e32 v25, v67, v5                                 // 000000004880: 68320B43
	v_mul_u32_u24_dpp v64, v16, v63 quad_perm:[0,0,0,0] row_mask:0xf bank_mask:0xf// 000000004884: 10807EFA FF000010
	v_add_u32_e32 v2, v64, v59                                 // 00000000488C: 68047740
	v_mul_u32_u24_dpp v64, v16, v63 quad_perm:[0,0,0,0] row_mask:0xf bank_mask:0xf// 000000004890: 10807EFA FF000010
	v_add_u32_e32 v55, v64, v60                                // 000000004898: 686E7940
	v_mfma_i32_16x16x32_i8 v[112:115], a[32:33], v[80:81], 0   // 00000000489C: D3D70070 0A02A120
	buffer_load_dwordx4 a[0:3], v22, s[16:19], 0 offen         // 0000000048A4: E05C1000 80840016
	v_mfma_i32_16x16x32_i8 v[112:115], a[34:35], v[82:83], v[112:115]// 0000000048AC: D3D70070 0DC2A522
	v_mfma_i32_16x16x32_i8 v[112:115], a[36:37], v[84:85], v[112:115]// 0000000048B4: D3D70070 0DC2A924
	buffer_load_dword v17, v1, s[24:27], 0 offen               // 0000000048BC: E0501000 80061101
	v_mfma_i32_16x16x32_i8 v[112:115], a[38:39], v[86:87], v[112:115]// 0000000048C4: D3D70070 0DC2AD26
	v_mfma_i32_16x16x32_i8 v[116:119], a[40:41], v[80:81], 0   // 0000000048CC: D3D70074 0A02A128
	buffer_load_dwordx4 a[4:7], v22, s[16:19], 0 offen offset:1024// 0000000048D4: E05C1400 80840416
	v_mfma_i32_16x16x32_i8 v[116:119], a[42:43], v[82:83], v[116:119]// 0000000048DC: D3D70074 0DD2A52A
	v_mfma_i32_16x16x32_i8 v[116:119], a[44:45], v[84:85], v[116:119]// 0000000048E4: D3D70074 0DD2A92C
	v_mfma_i32_16x16x32_i8 v[116:119], a[46:47], v[86:87], v[116:119]// 0000000048EC: D3D70074 0DD2AD2E
	v_mfma_i32_16x16x32_i8 v[120:123], a[48:49], v[80:81], 0   // 0000000048F4: D3D70078 0A02A130
	buffer_load_dwordx4 a[8:11], v23, s[16:19], 0 offen        // 0000000048FC: E05C1000 80840817
	v_mfma_i32_16x16x32_i8 v[120:123], a[50:51], v[82:83], v[120:123]// 000000004904: D3D70078 0DE2A532
	v_mfma_i32_16x16x32_i8 v[120:123], a[52:53], v[84:85], v[120:123]// 00000000490C: D3D70078 0DE2A934
	v_mfma_i32_16x16x32_i8 v[120:123], a[54:55], v[86:87], v[120:123]// 000000004914: D3D70078 0DE2AD36
	v_mfma_i32_16x16x32_i8 v[124:127], a[56:57], v[80:81], 0   // 00000000491C: D3D7007C 0A02A138
	buffer_load_dwordx4 a[12:15], v23, s[16:19], 0 offen offset:1024// 000000004924: E05C1400 80840C17
	v_mfma_i32_16x16x32_i8 v[124:127], a[58:59], v[82:83], v[124:127]// 00000000492C: D3D7007C 0DF2A53A
	v_mfma_i32_16x16x32_i8 v[124:127], a[60:61], v[84:85], v[124:127]// 000000004934: D3D7007C 0DF2A93C
	v_mfma_i32_16x16x32_i8 v[124:127], a[62:63], v[86:87], v[124:127]// 00000000493C: D3D7007C 0DF2AD3E
	buffer_load_dword v42, v2, s[32:35], 0 offen               // 000000004944: E0501000 80082A02
	v_mov_b32_dpp v64, v43 row_shr:4 row_mask:0xf bank_mask:0xf// 00000000494C: 7E8002FA FF01142B
	v_mov_b32_dpp v65, v43 row_shl:4 row_mask:0xf bank_mask:0xf// 000000004954: 7E8202FA FF01042B
	v_cndmask_b32_e64 v248, v43, v64, s[44:45]                 // 00000000495C: D10000F8 00B2812B
	v_cndmask_b32_e64 v249, v65, v43, s[44:45]                 // 000000004964: D10000F9 00B25741
	v_mov_b32_dpp v64, v248 row_shr:8 row_mask:0xf bank_mask:0xf// 00000000496C: 7E8002FA FF0118F8
	v_mov_b32_dpp v65, v248 row_shl:8 row_mask:0xf bank_mask:0xf// 000000004974: 7E8202FA FF0108F8
	v_mov_b32_dpp v66, v249 row_shr:8 row_mask:0xf bank_mask:0xf// 00000000497C: 7E8402FA FF0118F9
	v_mov_b32_dpp v67, v249 row_shl:8 row_mask:0xf bank_mask:0xf// 000000004984: 7E8602FA FF0108F9
	v_mov_b32_e32 v68, v248                                    // 00000000498C: 7E8803F8
	v_mov_b32_e32 v69, v249                                    // 000000004990: 7E8A03F9
	v_cndmask_b32_e64 v248, v68, v64, s[42:43]                 // 000000004994: D10000F8 00AA8144
	v_cndmask_b32_e64 v250, v68, v65, s[78:79]                 // 00000000499C: D10000FA 013A8344
	v_cndmask_b32_e64 v249, v69, v66, s[42:43]                 // 0000000049A4: D10000F9 00AA8545
	v_cndmask_b32_e64 v251, v69, v67, s[78:79]                 // 0000000049AC: D10000FB 013A8745
	v_mov_b32_dpp v64, v58 row_shr:4 row_mask:0xf bank_mask:0xf// 0000000049B4: 7E8002FA FF01143A
	v_mov_b32_dpp v65, v58 row_shl:4 row_mask:0xf bank_mask:0xf// 0000000049BC: 7E8202FA FF01043A
	v_cndmask_b32_e64 v252, v58, v64, s[44:45]                 // 0000000049C4: D10000FC 00B2813A
	v_cndmask_b32_e64 v253, v65, v58, s[44:45]                 // 0000000049CC: D10000FD 00B27541
	v_mov_b32_dpp v64, v252 row_shr:8 row_mask:0xf bank_mask:0xf// 0000000049D4: 7E8002FA FF0118FC
	v_mov_b32_dpp v65, v252 row_shl:8 row_mask:0xf bank_mask:0xf// 0000000049DC: 7E8202FA FF0108FC
	v_mov_b32_dpp v66, v253 row_shr:8 row_mask:0xf bank_mask:0xf// 0000000049E4: 7E8402FA FF0118FD
	v_mov_b32_dpp v67, v253 row_shl:8 row_mask:0xf bank_mask:0xf// 0000000049EC: 7E8602FA FF0108FD
	v_mov_b32_e32 v68, v252                                    // 0000000049F4: 7E8803FC
	v_mov_b32_e32 v69, v253                                    // 0000000049F8: 7E8A03FD
	v_cndmask_b32_e64 v252, v68, v64, s[42:43]                 // 0000000049FC: D10000FC 00AA8144
	v_cndmask_b32_e64 v254, v68, v65, s[78:79]                 // 000000004A04: D10000FE 013A8344
	v_cndmask_b32_e64 v253, v69, v66, s[42:43]                 // 000000004A0C: D10000FD 00AA8545
	v_cndmask_b32_e64 v255, v69, v67, s[78:79]                 // 000000004A14: D10000FF 013A8745
	buffer_load_dword v57, v55, s[36:39], 0 offen              // 000000004A1C: E0501000 80093937
	v_cvt_f32_i32_e32 v112, v112                               // 000000004A24: 7EE00B70
	v_cvt_f32_i32_e32 v113, v113                               // 000000004A28: 7EE20B71
	v_cvt_f32_i32_e32 v114, v114                               // 000000004A2C: 7EE40B72
	v_cvt_f32_i32_e32 v115, v115                               // 000000004A30: 7EE60B73
	v_cvt_f32_i32_e32 v116, v116                               // 000000004A34: 7EE80B74
	v_cvt_f32_i32_e32 v117, v117                               // 000000004A38: 7EEA0B75
	v_cvt_f32_i32_e32 v118, v118                               // 000000004A3C: 7EEC0B76
	v_cvt_f32_i32_e32 v119, v119                               // 000000004A40: 7EEE0B77
	v_cvt_f32_i32_e32 v120, v120                               // 000000004A44: 7EF00B78
	v_cvt_f32_i32_e32 v121, v121                               // 000000004A48: 7EF20B79
	v_cvt_f32_i32_e32 v122, v122                               // 000000004A4C: 7EF40B7A
	v_cvt_f32_i32_e32 v123, v123                               // 000000004A50: 7EF60B7B
	v_cvt_f32_i32_e32 v124, v124                               // 000000004A54: 7EF80B7C
	v_cvt_f32_i32_e32 v125, v125                               // 000000004A58: 7EFA0B7D
	v_cvt_f32_i32_e32 v126, v126                               // 000000004A5C: 7EFC0B7E
	v_cvt_f32_i32_e32 v127, v127                               // 000000004A60: 7EFE0B7F
	v_mul_f32_e32 v112, v18, v112                              // 000000004A64: 0AE0E112
	v_mul_f32_e32 v113, v18, v113                              // 000000004A68: 0AE2E312
	v_mul_f32_e32 v114, v18, v114                              // 000000004A6C: 0AE4E512
	v_mul_f32_e32 v115, v18, v115                              // 000000004A70: 0AE6E712
	v_mul_f32_e32 v116, v18, v116                              // 000000004A74: 0AE8E912
	v_mul_f32_e32 v117, v18, v117                              // 000000004A78: 0AEAEB12
	v_mul_f32_e32 v118, v18, v118                              // 000000004A7C: 0AECED12
	v_mul_f32_e32 v119, v18, v119                              // 000000004A80: 0AEEEF12
	v_mul_f32_e32 v120, v18, v120                              // 000000004A84: 0AF0F112
	v_mul_f32_e32 v121, v18, v121                              // 000000004A88: 0AF2F312
	v_mul_f32_e32 v122, v18, v122                              // 000000004A8C: 0AF4F512
	v_mul_f32_e32 v123, v18, v123                              // 000000004A90: 0AF6F712
	v_mul_f32_e32 v124, v18, v124                              // 000000004A94: 0AF8F912
	v_mul_f32_e32 v125, v18, v125                              // 000000004A98: 0AFAFB12
	v_mul_f32_e32 v126, v18, v126                              // 000000004A9C: 0AFCFD12
	v_mul_f32_e32 v127, v18, v127                              // 000000004AA0: 0AFEFF12
	buffer_load_dwordx4 a[16:19], v24, s[16:19], 0 offen       // 000000004AA4: E05C1000 80841018
	v_mul_f32_dpp v112, v248, v112 quad_perm:[0,0,0,0] row_mask:0xf bank_mask:0xf// 000000004AAC: 0AE0E0FA FF0000F8
	v_mul_f32_dpp v113, v248, v113 quad_perm:[1,1,1,1] row_mask:0xf bank_mask:0xf// 000000004AB4: 0AE2E2FA FF0055F8
	v_mul_f32_dpp v114, v248, v114 quad_perm:[2,2,2,2] row_mask:0xf bank_mask:0xf// 000000004ABC: 0AE4E4FA FF00AAF8
	v_mul_f32_dpp v115, v248, v115 quad_perm:[3,3,3,3] row_mask:0xf bank_mask:0xf// 000000004AC4: 0AE6E6FA FF00FFF8
	v_mul_f32_dpp v116, v249, v116 quad_perm:[0,0,0,0] row_mask:0xf bank_mask:0xf// 000000004ACC: 0AE8E8FA FF0000F9
	v_mul_f32_dpp v117, v249, v117 quad_perm:[1,1,1,1] row_mask:0xf bank_mask:0xf// 000000004AD4: 0AEAEAFA FF0055F9
	v_mul_f32_dpp v118, v249, v118 quad_perm:[2,2,2,2] row_mask:0xf bank_mask:0xf// 000000004ADC: 0AECECFA FF00AAF9
	v_mul_f32_dpp v119, v249, v119 quad_perm:[3,3,3,3] row_mask:0xf bank_mask:0xf// 000000004AE4: 0AEEEEFA FF00FFF9
	v_mul_f32_dpp v120, v250, v120 quad_perm:[0,0,0,0] row_mask:0xf bank_mask:0xf// 000000004AEC: 0AF0F0FA FF0000FA
	v_mul_f32_dpp v121, v250, v121 quad_perm:[1,1,1,1] row_mask:0xf bank_mask:0xf// 000000004AF4: 0AF2F2FA FF0055FA
	v_mul_f32_dpp v122, v250, v122 quad_perm:[2,2,2,2] row_mask:0xf bank_mask:0xf// 000000004AFC: 0AF4F4FA FF00AAFA
	v_mul_f32_dpp v123, v250, v123 quad_perm:[3,3,3,3] row_mask:0xf bank_mask:0xf// 000000004B04: 0AF6F6FA FF00FFFA
	v_mul_f32_dpp v124, v251, v124 quad_perm:[0,0,0,0] row_mask:0xf bank_mask:0xf// 000000004B0C: 0AF8F8FA FF0000FB
	v_mul_f32_dpp v125, v251, v125 quad_perm:[1,1,1,1] row_mask:0xf bank_mask:0xf// 000000004B14: 0AFAFAFA FF0055FB
	v_mul_f32_dpp v126, v251, v126 quad_perm:[2,2,2,2] row_mask:0xf bank_mask:0xf// 000000004B1C: 0AFCFCFA FF00AAFB
	v_mul_f32_dpp v127, v251, v127 quad_perm:[3,3,3,3] row_mask:0xf bank_mask:0xf// 000000004B24: 0AFEFEFA FF00FFFB
	buffer_load_dwordx4 a[20:23], v24, s[16:19], 0 offen offset:1024// 000000004B2C: E05C1400 80841418
	v_mov_b32_e32 v48, v112                                    // 000000004B34: 7E600370
	v_max3_f32 v48, v112, v113, v48                            // 000000004B38: D1D30030 04C2E370
	v_max3_f32 v48, v114, v115, v48                            // 000000004B40: D1D30030 04C2E772
	v_max3_f32 v48, v116, v117, v48                            // 000000004B48: D1D30030 04C2EB74
	v_max3_f32 v48, v118, v119, v48                            // 000000004B50: D1D30030 04C2EF76
	v_max3_f32 v48, v120, v121, v48                            // 000000004B58: D1D30030 04C2F378
	v_max3_f32 v48, v122, v123, v48                            // 000000004B60: D1D30030 04C2F77A
	v_max3_f32 v48, v124, v125, v48                            // 000000004B68: D1D30030 04C2FB7C
	v_max3_f32 v48, v126, v127, v48                            // 000000004B70: D1D30030 04C2FF7E
	ds_write_b32 v8, v48 offset:16896                          // 000000004B78: D81A4200 00003008
	buffer_load_dwordx4 a[24:27], v25, s[16:19], 0 offen       // 000000004B80: E05C1000 80841819
	v_mul_u32_u24_dpp v64, v16, v54 row_newbcast:1 row_mask:0xf bank_mask:0xf// 000000004B88: 10806CFA FF015110
	v_mul_u32_u24_dpp v65, v16, v54 row_newbcast:5 row_mask:0xf bank_mask:0xf// 000000004B90: 10826CFA FF015510
	v_mul_u32_u24_dpp v66, v16, v54 row_newbcast:9 row_mask:0xf bank_mask:0xf// 000000004B98: 10846CFA FF015910
	v_mul_u32_u24_dpp v67, v16, v54 row_newbcast:13 row_mask:0xf bank_mask:0xf// 000000004BA0: 10866CFA FF015D10
	v_add_u32_e32 v30, v64, v6                                 // 000000004BA8: 683C0D40
	v_add_u32_e32 v31, v65, v6                                 // 000000004BAC: 683E0D41
	v_add_u32_e32 v32, v66, v6                                 // 000000004BB0: 68400D42
	v_add_u32_e32 v33, v67, v6                                 // 000000004BB4: 68420D43
	v_mul_f32_e32 v208, v49, v208                              // 000000004BB8: 0BA1A131
	v_mul_f32_e32 v209, v49, v209                              // 000000004BBC: 0BA3A331
	v_mul_f32_e32 v210, v49, v210                              // 000000004BC0: 0BA5A531
	v_mul_f32_e32 v211, v49, v211                              // 000000004BC4: 0BA7A731
	v_mul_f32_e32 v212, v49, v212                              // 000000004BC8: 0BA9A931
	v_mul_f32_e32 v213, v49, v213                              // 000000004BCC: 0BABAB31
	v_mul_f32_e32 v214, v49, v214                              // 000000004BD0: 0BADAD31
	v_mul_f32_e32 v215, v49, v215                              // 000000004BD4: 0BAFAF31
	s_waitcnt lgkmcnt(0)                                       // 000000004BD8: BF8CC07F
	s_barrier                                                  // 000000004BDC: BF8A0000
	ds_read_b32 v64, v7 offset:16896                           // 000000004BE0: D86C4200 40000007
	ds_read_b32 v65, v7 offset:16960                           // 000000004BE8: D86C4240 41000007
	ds_read_b32 v66, v7 offset:17024                           // 000000004BF0: D86C4280 42000007
	ds_read_b32 v67, v7 offset:17088                           // 000000004BF8: D86C42C0 43000007
	ds_read_b32 v68, v7 offset:17152                           // 000000004C00: D86C4300 44000007
	ds_read_b32 v69, v7 offset:17216                           // 000000004C08: D86C4340 45000007
	ds_read_b32 v70, v7 offset:17280                           // 000000004C10: D86C4380 46000007
	ds_read_b32 v71, v7 offset:17344                           // 000000004C18: D86C43C0 47000007
	ds_read_b32 v72, v7 offset:17408                           // 000000004C20: D86C4400 48000007
	ds_read_b32 v73, v7 offset:17472                           // 000000004C28: D86C4440 49000007
	ds_read_b32 v74, v7 offset:17536                           // 000000004C30: D86C4480 4A000007
	ds_read_b32 v75, v7 offset:17600                           // 000000004C38: D86C44C0 4B000007
	ds_read_b32 v76, v7 offset:17664                           // 000000004C40: D86C4500 4C000007
	ds_read_b32 v77, v7 offset:17728                           // 000000004C48: D86C4540 4D000007
	ds_read_b32 v78, v7 offset:17792                           // 000000004C50: D86C4580 4E000007
	ds_read_b32 v79, v7 offset:17856                           // 000000004C58: D86C45C0 4F000007
	buffer_load_dwordx4 a[28:31], v25, s[16:19], 0 offen offset:1024// 000000004C60: E05C1400 80841C19
	v_cvt_f32_i32_e32 v176, v176                               // 000000004C68: 7F600BB0
	v_cvt_f32_i32_e32 v177, v177                               // 000000004C6C: 7F620BB1
	v_cvt_f32_i32_e32 v178, v178                               // 000000004C70: 7F640BB2
	v_cvt_f32_i32_e32 v179, v179                               // 000000004C74: 7F660BB3
	v_cvt_f32_i32_e32 v180, v180                               // 000000004C78: 7F680BB4
	v_cvt_f32_i32_e32 v181, v181                               // 000000004C7C: 7F6A0BB5
	v_cvt_f32_i32_e32 v182, v182                               // 000000004C80: 7F6C0BB6
	v_cvt_f32_i32_e32 v183, v183                               // 000000004C84: 7F6E0BB7
	v_mul_f32_e32 v176, v44, v176                              // 000000004C88: 0B61612C
	v_mul_f32_e32 v177, v44, v177                              // 000000004C8C: 0B63632C
	v_mul_f32_e32 v178, v44, v178                              // 000000004C90: 0B65652C
	v_mul_f32_e32 v179, v44, v179                              // 000000004C94: 0B67672C
	v_mul_f32_e32 v180, v44, v180                              // 000000004C98: 0B69692C
	v_mul_f32_e32 v181, v44, v181                              // 000000004C9C: 0B6B6B2C
	v_mul_f32_e32 v182, v44, v182                              // 000000004CA0: 0B6D6D2C
	v_mul_f32_e32 v183, v44, v183                              // 000000004CA4: 0B6F6F2C
	s_waitcnt lgkmcnt(0)                                       // 000000004CA8: BF8CC07F
	v_max3_f32 v48, v64, v65, v48                              // 000000004CAC: D1D30030 04C28340
	v_max3_f32 v48, v66, v67, v48                              // 000000004CB4: D1D30030 04C28742
	v_max3_f32 v48, v68, v69, v48                              // 000000004CBC: D1D30030 04C28B44
	v_max3_f32 v48, v70, v71, v48                              // 000000004CC4: D1D30030 04C28F46
	v_max3_f32 v48, v72, v73, v48                              // 000000004CCC: D1D30030 04C29348
	v_max3_f32 v48, v74, v75, v48                              // 000000004CD4: D1D30030 04C2974A
	v_max3_f32 v48, v76, v77, v48                              // 000000004CDC: D1D30030 04C29B4C
	v_max3_f32 v48, v78, v79, v48                              // 000000004CE4: D1D30030 04C29F4E
	buffer_load_dwordx4 a[64:67], v30, s[20:23], 0 offen       // 000000004CEC: E05C1000 8085401E
	v_mov_b32_e32 v64, 0xff800000                              // 000000004CF4: 7E8002FF FF800000
	v_cmp_eq_u32_e64 s[40:41], v64, v11                        // 000000004CFC: D0CA0028 00021740
	s_nop 1                                                    // 000000004D04: BF800001
	v_max_f32_e32 v15, v48, v11                                // 000000004D08: 161E1730
	v_mul_f32_e32 v53, s64, v15                                // 000000004D0C: 0A6A1E40
	v_fma_f32 v112, v112, s64, -v53                            // 000000004D10: D1CB0070 84D48170
	v_fma_f32 v113, v113, s64, -v53                            // 000000004D18: D1CB0071 84D48171
	v_fma_f32 v114, v114, s64, -v53                            // 000000004D20: D1CB0072 84D48172
	v_fma_f32 v115, v115, s64, -v53                            // 000000004D28: D1CB0073 84D48173
	v_fma_f32 v116, v116, s64, -v53                            // 000000004D30: D1CB0074 84D48174
	v_fma_f32 v117, v117, s64, -v53                            // 000000004D38: D1CB0075 84D48175
	v_fma_f32 v118, v118, s64, -v53                            // 000000004D40: D1CB0076 84D48176
	v_fma_f32 v119, v119, s64, -v53                            // 000000004D48: D1CB0077 84D48177
	v_fma_f32 v120, v120, s64, -v53                            // 000000004D50: D1CB0078 84D48178
	v_fma_f32 v121, v121, s64, -v53                            // 000000004D58: D1CB0079 84D48179
	v_fma_f32 v122, v122, s64, -v53                            // 000000004D60: D1CB007A 84D4817A
	v_fma_f32 v123, v123, s64, -v53                            // 000000004D68: D1CB007B 84D4817B
	v_fma_f32 v124, v124, s64, -v53                            // 000000004D70: D1CB007C 84D4817C
	v_fma_f32 v125, v125, s64, -v53                            // 000000004D78: D1CB007D 84D4817D
	v_fma_f32 v126, v126, s64, -v53                            // 000000004D80: D1CB007E 84D4817E
	v_fma_f32 v127, v127, s64, -v53                            // 000000004D88: D1CB007F 84D4817F
	buffer_load_dwordx4 a[68:71], v31, s[20:23], 0 offen       // 000000004D90: E05C1000 8085441F
	v_exp_f32_e32 v112, v112                                   // 000000004D98: 7EE04170
	v_exp_f32_e32 v113, v113                                   // 000000004D9C: 7EE24171
	v_exp_f32_e32 v114, v114                                   // 000000004DA0: 7EE44172
	v_exp_f32_e32 v115, v115                                   // 000000004DA4: 7EE64173
	v_exp_f32_e32 v116, v116                                   // 000000004DA8: 7EE84174
	v_exp_f32_e32 v117, v117                                   // 000000004DAC: 7EEA4175
	v_exp_f32_e32 v118, v118                                   // 000000004DB0: 7EEC4176
	v_exp_f32_e32 v119, v119                                   // 000000004DB4: 7EEE4177
	v_exp_f32_e32 v120, v120                                   // 000000004DB8: 7EF04178
	v_exp_f32_e32 v121, v121                                   // 000000004DBC: 7EF24179
	v_exp_f32_e32 v122, v122                                   // 000000004DC0: 7EF4417A
	v_exp_f32_e32 v123, v123                                   // 000000004DC4: 7EF6417B
	v_exp_f32_e32 v124, v124                                   // 000000004DC8: 7EF8417C
	v_exp_f32_e32 v125, v125                                   // 000000004DCC: 7EFA417D
	v_exp_f32_e32 v126, v126                                   // 000000004DD0: 7EFC417E
	v_exp_f32_e32 v127, v127                                   // 000000004DD4: 7EFE417F
	buffer_load_dwordx4 a[72:75], v32, s[20:23], 0 offen       // 000000004DD8: E05C1000 80854820
	v_mul_f32_dpp v240, v252, v112 quad_perm:[0,0,0,0] row_mask:0xf bank_mask:0xf// 000000004DE0: 0BE0E0FA FF0000FC
	v_mul_f32_dpp v241, v252, v113 quad_perm:[1,1,1,1] row_mask:0xf bank_mask:0xf// 000000004DE8: 0BE2E2FA FF0055FC
	v_mul_f32_dpp v242, v252, v114 quad_perm:[2,2,2,2] row_mask:0xf bank_mask:0xf// 000000004DF0: 0BE4E4FA FF00AAFC
	v_mul_f32_dpp v243, v252, v115 quad_perm:[3,3,3,3] row_mask:0xf bank_mask:0xf// 000000004DF8: 0BE6E6FA FF00FFFC
	v_mul_f32_dpp v244, v253, v116 quad_perm:[0,0,0,0] row_mask:0xf bank_mask:0xf// 000000004E00: 0BE8E8FA FF0000FD
	v_mul_f32_dpp v245, v253, v117 quad_perm:[1,1,1,1] row_mask:0xf bank_mask:0xf// 000000004E08: 0BEAEAFA FF0055FD
	v_mul_f32_dpp v246, v253, v118 quad_perm:[2,2,2,2] row_mask:0xf bank_mask:0xf// 000000004E10: 0BECECFA FF00AAFD
	v_mul_f32_dpp v247, v253, v119 quad_perm:[3,3,3,3] row_mask:0xf bank_mask:0xf// 000000004E18: 0BEEEEFA FF00FFFD
	v_mul_f32_dpp v248, v254, v120 quad_perm:[0,0,0,0] row_mask:0xf bank_mask:0xf// 000000004E20: 0BF0F0FA FF0000FE
	v_mul_f32_dpp v249, v254, v121 quad_perm:[1,1,1,1] row_mask:0xf bank_mask:0xf// 000000004E28: 0BF2F2FA FF0055FE
	v_mul_f32_dpp v250, v254, v122 quad_perm:[2,2,2,2] row_mask:0xf bank_mask:0xf// 000000004E30: 0BF4F4FA FF00AAFE
	v_mul_f32_dpp v251, v254, v123 quad_perm:[3,3,3,3] row_mask:0xf bank_mask:0xf// 000000004E38: 0BF6F6FA FF00FFFE
	v_mul_f32_dpp v252, v255, v124 quad_perm:[0,0,0,0] row_mask:0xf bank_mask:0xf// 000000004E40: 0BF8F8FA FF0000FF
	v_mul_f32_dpp v253, v255, v125 quad_perm:[1,1,1,1] row_mask:0xf bank_mask:0xf// 000000004E48: 0BFAFAFA FF0055FF
	v_mul_f32_dpp v254, v255, v126 quad_perm:[2,2,2,2] row_mask:0xf bank_mask:0xf// 000000004E50: 0BFCFCFA FF00AAFF
	v_mul_f32_dpp v255, v255, v127 quad_perm:[3,3,3,3] row_mask:0xf bank_mask:0xf// 000000004E58: 0BFEFEFA FF00FFFF
	v_mov_b32_e32 v48, 0x358637bd                              // 000000004E60: 7E6002FF 358637BD
	v_max3_f32 v48, |v240|, |v241|, v48                        // 000000004E68: D1D30330 04C3E3F0
	v_max3_f32 v48, |v242|, |v243|, v48                        // 000000004E70: D1D30330 04C3E7F2
	v_max3_f32 v48, |v244|, |v245|, v48                        // 000000004E78: D1D30330 04C3EBF4
	v_max3_f32 v48, |v246|, |v247|, v48                        // 000000004E80: D1D30330 04C3EFF6
	v_max3_f32 v48, |v248|, |v249|, v48                        // 000000004E88: D1D30330 04C3F3F8
	v_max3_f32 v48, |v250|, |v251|, v48                        // 000000004E90: D1D30330 04C3F7FA
	v_max3_f32 v48, |v252|, |v253|, v48                        // 000000004E98: D1D30330 04C3FBFC
	v_max3_f32 v48, |v254|, |v255|, v48                        // 000000004EA0: D1D30330 04C3FFFE
	buffer_load_dwordx4 a[76:79], v33, s[20:23], 0 offen       // 000000004EA8: E05C1000 80854C21
	ds_write_b32 v8, v48 offset:20992                          // 000000004EB0: D81A5200 00003008
	v_sub_f32_e32 v49, v11, v15                                // 000000004EB8: 04621F0B
	v_cndmask_b32_e64 v49, v49, 0, s[40:41]                    // 000000004EBC: D1000031 00A10131
	v_mov_b32_e32 v11, v15                                     // 000000004EC4: 7E16030F
	v_mul_f32_e32 v49, s64, v49                                // 000000004EC8: 0A626240
	v_exp_f32_e32 v49, v49                                     // 000000004ECC: 7E624131
	s_waitcnt lgkmcnt(0)                                       // 000000004ED0: BF8CC07F
	s_barrier                                                  // 000000004ED4: BF8A0000
	ds_read_b32 v64, v7 offset:20992                           // 000000004ED8: D86C5200 40000007
	ds_read_b32 v65, v7 offset:21056                           // 000000004EE0: D86C5240 41000007
	ds_read_b32 v66, v7 offset:21120                           // 000000004EE8: D86C5280 42000007
	ds_read_b32 v67, v7 offset:21184                           // 000000004EF0: D86C52C0 43000007
	ds_read_b32 v68, v7 offset:21248                           // 000000004EF8: D86C5300 44000007
	ds_read_b32 v69, v7 offset:21312                           // 000000004F00: D86C5340 45000007
	ds_read_b32 v70, v7 offset:21376                           // 000000004F08: D86C5380 46000007
	ds_read_b32 v71, v7 offset:21440                           // 000000004F10: D86C53C0 47000007
	ds_read_b32 v72, v7 offset:21504                           // 000000004F18: D86C5400 48000007
	ds_read_b32 v73, v7 offset:21568                           // 000000004F20: D86C5440 49000007
	ds_read_b32 v74, v7 offset:21632                           // 000000004F28: D86C5480 4A000007
	ds_read_b32 v75, v7 offset:21696                           // 000000004F30: D86C54C0 4B000007
	ds_read_b32 v76, v7 offset:21760                           // 000000004F38: D86C5500 4C000007
	ds_read_b32 v77, v7 offset:21824                           // 000000004F40: D86C5540 4D000007
	ds_read_b32 v78, v7 offset:21888                           // 000000004F48: D86C5580 4E000007
	ds_read_b32 v79, v7 offset:21952                           // 000000004F50: D86C55C0 4F000007
	v_mul_f32_e32 v38, v49, v38                                // 000000004F58: 0A4C4D31
	v_mov_b32_e32 v15, v112                                    // 000000004F5C: 7E1E0370
	v_add_f32_e32 v15, v113, v15                               // 000000004F60: 021E1F71
	v_add_f32_e32 v15, v114, v15                               // 000000004F64: 021E1F72
	v_add_f32_e32 v15, v115, v15                               // 000000004F68: 021E1F73
	v_add_f32_e32 v15, v116, v15                               // 000000004F6C: 021E1F74
	v_add_f32_e32 v15, v117, v15                               // 000000004F70: 021E1F75
	v_add_f32_e32 v15, v118, v15                               // 000000004F74: 021E1F76
	v_add_f32_e32 v15, v119, v15                               // 000000004F78: 021E1F77
	v_add_f32_e32 v15, v120, v15                               // 000000004F7C: 021E1F78
	v_add_f32_e32 v15, v121, v15                               // 000000004F80: 021E1F79
	v_add_f32_e32 v15, v122, v15                               // 000000004F84: 021E1F7A
	v_add_f32_e32 v15, v123, v15                               // 000000004F88: 021E1F7B
	v_add_f32_e32 v15, v124, v15                               // 000000004F8C: 021E1F7C
	v_add_f32_e32 v15, v125, v15                               // 000000004F90: 021E1F7D
	v_add_f32_e32 v15, v126, v15                               // 000000004F94: 021E1F7E
	v_add_f32_e32 v15, v127, v15                               // 000000004F98: 021E1F7F
	v_add_f32_e32 v38, v15, v38                                // 000000004F9C: 024C4D0F
	s_waitcnt lgkmcnt(0)                                       // 000000004FA0: BF8CC07F
	v_max3_f32 v48, |v64|, |v65|, v48                          // 000000004FA4: D1D30330 04C28340
	v_max3_f32 v48, |v66|, |v67|, v48                          // 000000004FAC: D1D30330 04C28742
	v_max3_f32 v48, |v68|, |v69|, v48                          // 000000004FB4: D1D30330 04C28B44
	v_max3_f32 v48, |v70|, |v71|, v48                          // 000000004FBC: D1D30330 04C28F46
	v_max3_f32 v48, |v72|, |v73|, v48                          // 000000004FC4: D1D30330 04C29348
	v_max3_f32 v48, |v74|, |v75|, v48                          // 000000004FCC: D1D30330 04C2974A
	v_max3_f32 v48, |v76|, |v77|, v48                          // 000000004FD4: D1D30330 04C29B4C
	v_max3_f32 v48, |v78|, |v79|, v48                          // 000000004FDC: D1D30330 04C29F4E
	s_nop 2                                                    // 000000004FE4: BF800002
	v_rcp_f32_e32 v48, v48                                     // 000000004FE8: 7E604530
	s_nop 1                                                    // 000000004FEC: BF800001
	v_mul_f32_e32 v48, 0x42fe0000, v48                         // 000000004FF0: 0A6060FF 42FE0000
	v_mul_f32_e32 v112, v48, v240                              // 000000004FF8: 0AE1E130
	v_mul_f32_e32 v113, v48, v241                              // 000000004FFC: 0AE3E330
	v_mul_f32_e32 v114, v48, v242                              // 000000005000: 0AE5E530
	v_mul_f32_e32 v115, v48, v243                              // 000000005004: 0AE7E730
	v_mul_f32_e32 v116, v48, v244                              // 000000005008: 0AE9E930
	v_mul_f32_e32 v117, v48, v245                              // 00000000500C: 0AEBEB30
	v_mul_f32_e32 v118, v48, v246                              // 000000005010: 0AEDED30
	v_mul_f32_e32 v119, v48, v247                              // 000000005014: 0AEFEF30
	v_mul_f32_e32 v120, v48, v248                              // 000000005018: 0AF1F130
	v_mul_f32_e32 v121, v48, v249                              // 00000000501C: 0AF3F330
	v_mul_f32_e32 v122, v48, v250                              // 000000005020: 0AF5F530
	v_mul_f32_e32 v123, v48, v251                              // 000000005024: 0AF7F730
	v_mul_f32_e32 v124, v48, v252                              // 000000005028: 0AF9F930
	v_mul_f32_e32 v125, v48, v253                              // 00000000502C: 0AFBFB30
	v_mul_f32_e32 v126, v48, v254                              // 000000005030: 0AFDFD30
	v_mul_f32_e32 v127, v48, v255                              // 000000005034: 0AFFFF30
	v_cvt_i32_f32_e32 v112, v112                               // 000000005038: 7EE01170
	v_cvt_i32_f32_e32 v113, v113                               // 00000000503C: 7EE21171
	v_cvt_i32_f32_e32 v114, v114                               // 000000005040: 7EE41172
	v_cvt_i32_f32_e32 v115, v115                               // 000000005044: 7EE61173
	v_cvt_i32_f32_e32 v116, v116                               // 000000005048: 7EE81174
	v_cvt_i32_f32_e32 v117, v117                               // 00000000504C: 7EEA1175
	v_cvt_i32_f32_e32 v118, v118                               // 000000005050: 7EEC1176
	v_cvt_i32_f32_e32 v119, v119                               // 000000005054: 7EEE1177
	v_cvt_i32_f32_e32 v120, v120                               // 000000005058: 7EF01178
	v_cvt_i32_f32_e32 v121, v121                               // 00000000505C: 7EF21179
	v_cvt_i32_f32_e32 v122, v122                               // 000000005060: 7EF4117A
	v_cvt_i32_f32_e32 v123, v123                               // 000000005064: 7EF6117B
	v_cvt_i32_f32_e32 v124, v124                               // 000000005068: 7EF8117C
	v_cvt_i32_f32_e32 v125, v125                               // 00000000506C: 7EFA117D
	v_cvt_i32_f32_e32 v126, v126                               // 000000005070: 7EFC117E
	v_cvt_i32_f32_e32 v127, v127                               // 000000005074: 7EFE117F
	v_perm_b32 v112, v113, v112, s53                           // 000000005078: D1ED0070 00D6E171
	v_perm_b32 v112, v114, v112, s54                           // 000000005080: D1ED0070 00DAE172
	v_perm_b32 v112, v115, v112, s55                           // 000000005088: D1ED0070 00DEE173
	v_perm_b32 v113, v117, v116, s53                           // 000000005090: D1ED0071 00D6E975
	v_perm_b32 v113, v118, v113, s54                           // 000000005098: D1ED0071 00DAE376
	v_perm_b32 v113, v119, v113, s55                           // 0000000050A0: D1ED0071 00DEE377
	v_perm_b32 v114, v121, v120, s53                           // 0000000050A8: D1ED0072 00D6F179
	v_perm_b32 v114, v122, v114, s54                           // 0000000050B0: D1ED0072 00DAE57A
	v_perm_b32 v114, v123, v114, s55                           // 0000000050B8: D1ED0072 00DEE57B
	v_perm_b32 v115, v125, v124, s53                           // 0000000050C0: D1ED0073 00D6F97D
	v_perm_b32 v115, v126, v115, s54                           // 0000000050C8: D1ED0073 00DAE77E
	v_perm_b32 v115, v127, v115, s55                           // 0000000050D0: D1ED0073 00DEE77F
	ds_write_b32 v10, v112 offset:25088                        // 0000000050D8: D81A6200 0000700A
	ds_write_b32 v10, v113 offset:26112                        // 0000000050E0: D81A6600 0000710A
	ds_write_b32 v10, v114 offset:27136                        // 0000000050E8: D81A6A00 0000720A
	ds_write_b32 v10, v115 offset:28160                        // 0000000050F0: D81A6E00 0000730A
	v_add_f32_e32 v208, v208, v176                             // 0000000050F8: 03A161D0
	v_add_f32_e32 v209, v209, v177                             // 0000000050FC: 03A363D1
	v_add_f32_e32 v210, v210, v178                             // 000000005100: 03A565D2
	v_add_f32_e32 v211, v211, v179                             // 000000005104: 03A767D3
	v_add_f32_e32 v212, v212, v180                             // 000000005108: 03A969D4
	v_add_f32_e32 v213, v213, v181                             // 00000000510C: 03AB6BD5
	v_add_f32_e32 v214, v214, v182                             // 000000005110: 03AD6DD6
	v_add_f32_e32 v215, v215, v183                             // 000000005114: 03AF6FD7
	v_rcp_f32_e32 v44, v48                                     // 000000005118: 7E584530
	s_waitcnt lgkmcnt(0)                                       // 00000000511C: BF8CC07F
	s_barrier                                                  // 000000005120: BF8A0000
	ds_read_b64 v[112:113], v9 offset:25088                    // 000000005124: D8EC6200 70000009
	ds_read_b64 v[114:115], v9 offset:25216                    // 00000000512C: D8EC6280 72000009
	ds_read_b64 v[116:117], v9 offset:26112                    // 000000005134: D8EC6600 74000009
	ds_read_b64 v[118:119], v9 offset:26240                    // 00000000513C: D8EC6680 76000009
	ds_read_b64 v[120:121], v9 offset:27136                    // 000000005144: D8EC6A00 78000009
	ds_read_b64 v[122:123], v9 offset:27264                    // 00000000514C: D8EC6A80 7A000009
	ds_read_b64 v[124:125], v9 offset:28160                    // 000000005154: D8EC6E00 7C000009
	ds_read_b64 v[126:127], v9 offset:28288                    // 00000000515C: D8EC6E80 7E000009
	s_waitcnt vmcnt(15)                                        // 000000005164: BF8C0F7F
	s_waitcnt lgkmcnt(7)                                       // 000000005168: BF8CC77F
	v_mfma_i32_16x16x32_i8 v[176:179], a[96:97], v[112:113], 0 // 00000000516C: D3D700B0 0A02E160
	buffer_load_dwordx4 a[80:83], v30, s[20:23], 0 offen offset:1024// 000000005174: E05C1400 8085501E
	s_waitcnt lgkmcnt(6)                                       // 00000000517C: BF8CC67F
	v_mfma_i32_16x16x32_i8 v[176:179], a[98:99], v[114:115], v[176:179]// 000000005180: D3D700B0 0EC2E562
	s_waitcnt lgkmcnt(5)                                       // 000000005188: BF8CC57F
	v_mfma_i32_16x16x32_i8 v[176:179], a[100:101], v[116:117], v[176:179]// 00000000518C: D3D700B0 0EC2E964
	s_waitcnt lgkmcnt(4)                                       // 000000005194: BF8CC47F
	v_mfma_i32_16x16x32_i8 v[176:179], a[102:103], v[118:119], v[176:179]// 000000005198: D3D700B0 0EC2ED66
	s_waitcnt lgkmcnt(3)                                       // 0000000051A0: BF8CC37F
	v_mfma_i32_16x16x32_i8 v[176:179], a[104:105], v[120:121], v[176:179]// 0000000051A4: D3D700B0 0EC2F168
	buffer_load_dwordx4 a[84:87], v31, s[20:23], 0 offen offset:1024// 0000000051AC: E05C1400 8085541F
	s_waitcnt lgkmcnt(2)                                       // 0000000051B4: BF8CC27F
	v_mfma_i32_16x16x32_i8 v[176:179], a[106:107], v[122:123], v[176:179]// 0000000051B8: D3D700B0 0EC2F56A
	s_waitcnt lgkmcnt(1)                                       // 0000000051C0: BF8CC17F
	v_mfma_i32_16x16x32_i8 v[176:179], a[108:109], v[124:125], v[176:179]// 0000000051C4: D3D700B0 0EC2F96C
	s_waitcnt lgkmcnt(0)                                       // 0000000051CC: BF8CC07F
	v_mfma_i32_16x16x32_i8 v[176:179], a[110:111], v[126:127], v[176:179]// 0000000051D0: D3D700B0 0EC2FD6E
	v_mfma_i32_16x16x32_i8 v[180:183], a[112:113], v[112:113], 0// 0000000051D8: D3D700B4 0A02E170
	buffer_load_dwordx4 a[88:91], v32, s[20:23], 0 offen offset:1024// 0000000051E0: E05C1400 80855820
	v_mfma_i32_16x16x32_i8 v[180:183], a[114:115], v[114:115], v[180:183]// 0000000051E8: D3D700B4 0ED2E572
	v_mfma_i32_16x16x32_i8 v[180:183], a[116:117], v[116:117], v[180:183]// 0000000051F0: D3D700B4 0ED2E974
	v_mfma_i32_16x16x32_i8 v[180:183], a[118:119], v[118:119], v[180:183]// 0000000051F8: D3D700B4 0ED2ED76
	v_mfma_i32_16x16x32_i8 v[180:183], a[120:121], v[120:121], v[180:183]// 000000005200: D3D700B4 0ED2F178
	buffer_load_dwordx4 a[92:95], v33, s[20:23], 0 offen offset:1024// 000000005208: E05C1400 80855C21
	v_mfma_i32_16x16x32_i8 v[180:183], a[122:123], v[122:123], v[180:183]// 000000005210: D3D700B4 0ED2F57A
	v_mfma_i32_16x16x32_i8 v[180:183], a[124:125], v[124:125], v[180:183]// 000000005218: D3D700B4 0ED2F97C
	s_lshr_b32 s57, s70, 4                                     // 000000005220: 8F398446
	s_add_u32 s57, 48, s57                                     // 000000005224: 803939B0
	v_mfma_i32_16x16x32_i8 v[180:183], a[126:127], v[126:127], v[180:183]// 000000005228: D3D700B4 0ED2FD7E
	s_cmp_ge_u32 s57, s73                                      // 000000005230: BF094939
	s_cselect_b32 s56, 0, s56                                  // 000000005234: 85383880
	v_add_u32_e32 v1, s56, v1                                  // 000000005238: 68020238
	s_addk_i32 s70, 0x100                                      // 00000000523C: B7460100
	s_cmp_lt_i32 s70, s71                                      // 000000005240: BF044746
	s_cbranch_scc0 label_0713                                  // 000000005244: BF84FB01
	s_branch label_0716                                        // 000000005248: BF82FB03

000000000000524c <label_0C13>:
	s_lshr_b32 s60, s71, 4                                     // 00000000524C: 8F3C8447
	s_cmp_eq_i32 s60, s73                                      // 000000005250: BF00493C
	s_cbranch_scc1 label_1176                                  // 000000005254: BF850560
	s_lshr_b32 s60, s71, 8                                     // 000000005258: 8F3C8847
	s_and_b32 s60, s60, 1                                      // 00000000525C: 863C813C
	s_cmp_eq_i32 s60, 1                                        // 000000005260: BF00813C
	s_cbranch_scc1 label_0EC8                                  // 000000005264: BF8502AE
	s_waitcnt vmcnt(8) lgkmcnt(0)                              // 000000005268: BF8C0078
	s_barrier                                                  // 00000000526C: BF8A0000
	v_mfma_i32_16x16x32_i8 v[112:115], a[0:1], v[80:81], 0     // 000000005270: D3D70070 0A02A100
	v_mfma_i32_16x16x32_i8 v[112:115], a[2:3], v[82:83], v[112:115]// 000000005278: D3D70070 0DC2A502
	v_mfma_i32_16x16x32_i8 v[112:115], a[4:5], v[84:85], v[112:115]// 000000005280: D3D70070 0DC2A904
	v_mfma_i32_16x16x32_i8 v[112:115], a[6:7], v[86:87], v[112:115]// 000000005288: D3D70070 0DC2AD06
	v_mfma_i32_16x16x32_i8 v[116:119], a[8:9], v[80:81], 0     // 000000005290: D3D70074 0A02A108
	v_mfma_i32_16x16x32_i8 v[116:119], a[10:11], v[82:83], v[116:119]// 000000005298: D3D70074 0DD2A50A
	v_mfma_i32_16x16x32_i8 v[116:119], a[12:13], v[84:85], v[116:119]// 0000000052A0: D3D70074 0DD2A90C
	v_mfma_i32_16x16x32_i8 v[116:119], a[14:15], v[86:87], v[116:119]// 0000000052A8: D3D70074 0DD2AD0E
	v_mfma_i32_16x16x32_i8 v[120:123], a[16:17], v[80:81], 0   // 0000000052B0: D3D70078 0A02A110
	v_mfma_i32_16x16x32_i8 v[120:123], a[18:19], v[82:83], v[120:123]// 0000000052B8: D3D70078 0DE2A512
	v_mfma_i32_16x16x32_i8 v[120:123], a[20:21], v[84:85], v[120:123]// 0000000052C0: D3D70078 0DE2A914
	v_mfma_i32_16x16x32_i8 v[120:123], a[22:23], v[86:87], v[120:123]// 0000000052C8: D3D70078 0DE2AD16
	v_mfma_i32_16x16x32_i8 v[124:127], a[24:25], v[80:81], 0   // 0000000052D0: D3D7007C 0A02A118
	v_mfma_i32_16x16x32_i8 v[124:127], a[26:27], v[82:83], v[124:127]// 0000000052D8: D3D7007C 0DF2A51A
	v_mfma_i32_16x16x32_i8 v[124:127], a[28:29], v[84:85], v[124:127]// 0000000052E0: D3D7007C 0DF2A91C
	v_mfma_i32_16x16x32_i8 v[124:127], a[30:31], v[86:87], v[124:127]// 0000000052E8: D3D7007C 0DF2AD1E
	v_mov_b32_dpp v64, v42 row_shr:4 row_mask:0xf bank_mask:0xf// 0000000052F0: 7E8002FA FF01142A
	v_mov_b32_dpp v65, v42 row_shl:4 row_mask:0xf bank_mask:0xf// 0000000052F8: 7E8202FA FF01042A
	v_cndmask_b32_e64 v248, v42, v64, s[44:45]                 // 000000005300: D10000F8 00B2812A
	v_cndmask_b32_e64 v249, v65, v42, s[44:45]                 // 000000005308: D10000F9 00B25541
	v_mov_b32_dpp v64, v248 row_shr:8 row_mask:0xf bank_mask:0xf// 000000005310: 7E8002FA FF0118F8
	v_mov_b32_dpp v65, v248 row_shl:8 row_mask:0xf bank_mask:0xf// 000000005318: 7E8202FA FF0108F8
	v_mov_b32_dpp v66, v249 row_shr:8 row_mask:0xf bank_mask:0xf// 000000005320: 7E8402FA FF0118F9
	v_mov_b32_dpp v67, v249 row_shl:8 row_mask:0xf bank_mask:0xf// 000000005328: 7E8602FA FF0108F9
	v_mov_b32_e32 v68, v248                                    // 000000005330: 7E8803F8
	v_mov_b32_e32 v69, v249                                    // 000000005334: 7E8A03F9
	v_cndmask_b32_e64 v248, v68, v64, s[42:43]                 // 000000005338: D10000F8 00AA8144
	v_cndmask_b32_e64 v250, v68, v65, s[78:79]                 // 000000005340: D10000FA 013A8344
	v_cndmask_b32_e64 v249, v69, v66, s[42:43]                 // 000000005348: D10000F9 00AA8545
	v_cndmask_b32_e64 v251, v69, v67, s[78:79]                 // 000000005350: D10000FB 013A8745
	v_mov_b32_dpp v64, v57 row_shr:4 row_mask:0xf bank_mask:0xf// 000000005358: 7E8002FA FF011439
	v_mov_b32_dpp v65, v57 row_shl:4 row_mask:0xf bank_mask:0xf// 000000005360: 7E8202FA FF010439
	v_cndmask_b32_e64 v252, v57, v64, s[44:45]                 // 000000005368: D10000FC 00B28139
	v_cndmask_b32_e64 v253, v65, v57, s[44:45]                 // 000000005370: D10000FD 00B27341
	v_mov_b32_dpp v64, v252 row_shr:8 row_mask:0xf bank_mask:0xf// 000000005378: 7E8002FA FF0118FC
	v_mov_b32_dpp v65, v252 row_shl:8 row_mask:0xf bank_mask:0xf// 000000005380: 7E8202FA FF0108FC
	v_mov_b32_dpp v66, v253 row_shr:8 row_mask:0xf bank_mask:0xf// 000000005388: 7E8402FA FF0118FD
	v_mov_b32_dpp v67, v253 row_shl:8 row_mask:0xf bank_mask:0xf// 000000005390: 7E8602FA FF0108FD
	v_mov_b32_e32 v68, v252                                    // 000000005398: 7E8803FC
	v_mov_b32_e32 v69, v253                                    // 00000000539C: 7E8A03FD
	v_cndmask_b32_e64 v252, v68, v64, s[42:43]                 // 0000000053A0: D10000FC 00AA8144
	v_cndmask_b32_e64 v254, v68, v65, s[78:79]                 // 0000000053A8: D10000FE 013A8344
	v_cndmask_b32_e64 v253, v69, v66, s[42:43]                 // 0000000053B0: D10000FD 00AA8545
	v_cndmask_b32_e64 v255, v69, v67, s[78:79]                 // 0000000053B8: D10000FF 013A8745
	v_cvt_f32_i32_e32 v112, v112                               // 0000000053C0: 7EE00B70
	v_cvt_f32_i32_e32 v113, v113                               // 0000000053C4: 7EE20B71
	v_cvt_f32_i32_e32 v114, v114                               // 0000000053C8: 7EE40B72
	v_cvt_f32_i32_e32 v115, v115                               // 0000000053CC: 7EE60B73
	v_cvt_f32_i32_e32 v116, v116                               // 0000000053D0: 7EE80B74
	v_cvt_f32_i32_e32 v117, v117                               // 0000000053D4: 7EEA0B75
	v_cvt_f32_i32_e32 v118, v118                               // 0000000053D8: 7EEC0B76
	v_cvt_f32_i32_e32 v119, v119                               // 0000000053DC: 7EEE0B77
	v_cvt_f32_i32_e32 v120, v120                               // 0000000053E0: 7EF00B78
	v_cvt_f32_i32_e32 v121, v121                               // 0000000053E4: 7EF20B79
	v_cvt_f32_i32_e32 v122, v122                               // 0000000053E8: 7EF40B7A
	v_cvt_f32_i32_e32 v123, v123                               // 0000000053EC: 7EF60B7B
	v_cvt_f32_i32_e32 v124, v124                               // 0000000053F0: 7EF80B7C
	v_cvt_f32_i32_e32 v125, v125                               // 0000000053F4: 7EFA0B7D
	v_cvt_f32_i32_e32 v126, v126                               // 0000000053F8: 7EFC0B7E
	v_cvt_f32_i32_e32 v127, v127                               // 0000000053FC: 7EFE0B7F
	v_mul_f32_e32 v112, v18, v112                              // 000000005400: 0AE0E112
	v_mul_f32_e32 v113, v18, v113                              // 000000005404: 0AE2E312
	v_mul_f32_e32 v114, v18, v114                              // 000000005408: 0AE4E512
	v_mul_f32_e32 v115, v18, v115                              // 00000000540C: 0AE6E712
	v_mul_f32_e32 v116, v18, v116                              // 000000005410: 0AE8E912
	v_mul_f32_e32 v117, v18, v117                              // 000000005414: 0AEAEB12
	v_mul_f32_e32 v118, v18, v118                              // 000000005418: 0AECED12
	v_mul_f32_e32 v119, v18, v119                              // 00000000541C: 0AEEEF12
	v_mul_f32_e32 v120, v18, v120                              // 000000005420: 0AF0F112
	v_mul_f32_e32 v121, v18, v121                              // 000000005424: 0AF2F312
	v_mul_f32_e32 v122, v18, v122                              // 000000005428: 0AF4F512
	v_mul_f32_e32 v123, v18, v123                              // 00000000542C: 0AF6F712
	v_mul_f32_e32 v124, v18, v124                              // 000000005430: 0AF8F912
	v_mul_f32_e32 v125, v18, v125                              // 000000005434: 0AFAFB12
	v_mul_f32_e32 v126, v18, v126                              // 000000005438: 0AFCFD12
	v_mul_f32_e32 v127, v18, v127                              // 00000000543C: 0AFEFF12
	v_mul_f32_dpp v112, v248, v112 quad_perm:[0,0,0,0] row_mask:0xf bank_mask:0xf// 000000005440: 0AE0E0FA FF0000F8
	v_mul_f32_dpp v113, v248, v113 quad_perm:[1,1,1,1] row_mask:0xf bank_mask:0xf// 000000005448: 0AE2E2FA FF0055F8
	v_mul_f32_dpp v114, v248, v114 quad_perm:[2,2,2,2] row_mask:0xf bank_mask:0xf// 000000005450: 0AE4E4FA FF00AAF8
	v_mul_f32_dpp v115, v248, v115 quad_perm:[3,3,3,3] row_mask:0xf bank_mask:0xf// 000000005458: 0AE6E6FA FF00FFF8
	v_mul_f32_dpp v116, v249, v116 quad_perm:[0,0,0,0] row_mask:0xf bank_mask:0xf// 000000005460: 0AE8E8FA FF0000F9
	v_mul_f32_dpp v117, v249, v117 quad_perm:[1,1,1,1] row_mask:0xf bank_mask:0xf// 000000005468: 0AEAEAFA FF0055F9
	v_mul_f32_dpp v118, v249, v118 quad_perm:[2,2,2,2] row_mask:0xf bank_mask:0xf// 000000005470: 0AECECFA FF00AAF9
	v_mul_f32_dpp v119, v249, v119 quad_perm:[3,3,3,3] row_mask:0xf bank_mask:0xf// 000000005478: 0AEEEEFA FF00FFF9
	v_mul_f32_dpp v120, v250, v120 quad_perm:[0,0,0,0] row_mask:0xf bank_mask:0xf// 000000005480: 0AF0F0FA FF0000FA
	v_mul_f32_dpp v121, v250, v121 quad_perm:[1,1,1,1] row_mask:0xf bank_mask:0xf// 000000005488: 0AF2F2FA FF0055FA
	v_mul_f32_dpp v122, v250, v122 quad_perm:[2,2,2,2] row_mask:0xf bank_mask:0xf// 000000005490: 0AF4F4FA FF00AAFA
	v_mul_f32_dpp v123, v250, v123 quad_perm:[3,3,3,3] row_mask:0xf bank_mask:0xf// 000000005498: 0AF6F6FA FF00FFFA
	v_mul_f32_dpp v124, v251, v124 quad_perm:[0,0,0,0] row_mask:0xf bank_mask:0xf// 0000000054A0: 0AF8F8FA FF0000FB
	v_mul_f32_dpp v125, v251, v125 quad_perm:[1,1,1,1] row_mask:0xf bank_mask:0xf// 0000000054A8: 0AFAFAFA FF0055FB
	v_mul_f32_dpp v126, v251, v126 quad_perm:[2,2,2,2] row_mask:0xf bank_mask:0xf// 0000000054B0: 0AFCFCFA FF00AAFB
	v_mul_f32_dpp v127, v251, v127 quad_perm:[3,3,3,3] row_mask:0xf bank_mask:0xf// 0000000054B8: 0AFEFEFA FF00FFFB
	s_and_b32 s60, s72, 0xff                                   // 0000000054C0: 863CFF48 000000FF
	v_mov_b32_e32 v65, s60                                     // 0000000054C8: 7E82023C
	v_lshrrev_b32_e32 v240, 4, v0                              // 0000000054CC: 21E00084
	v_mul_i32_i24_e32 v240, 4, v240                            // 0000000054D0: 0DE1E084
	s_mul_i32 s60, s7, 16                                      // 0000000054D4: 923C9007
	v_add_u32_e32 v240, s60, v240                              // 0000000054D8: 69E1E03C
	v_add_u32_e32 v241, 1, v240                                // 0000000054DC: 69E3E081
	v_add_u32_e32 v242, 2, v240                                // 0000000054E0: 69E5E082
	v_add_u32_e32 v243, 3, v240                                // 0000000054E4: 69E7E083
	v_mov_b32_e32 v64, 0xff800000                              // 0000000054E8: 7E8002FF FF800000
	v_cmp_lt_u32_e64 s[40:41], v240, v65                       // 0000000054F0: D0C90028 000283F0
	v_add_u32_e32 v240, 64, v240                               // 0000000054F8: 69E1E0C0
	s_nop 0                                                    // 0000000054FC: BF800000
	v_cndmask_b32_e64 v112, v64, v112, s[40:41]                // 000000005500: D1000070 00A2E140
	v_cmp_lt_u32_e64 s[40:41], v241, v65                       // 000000005508: D0C90028 000283F1
	v_add_u32_e32 v241, 64, v241                               // 000000005510: 69E3E2C0
	s_nop 0                                                    // 000000005514: BF800000
	v_cndmask_b32_e64 v113, v64, v113, s[40:41]                // 000000005518: D1000071 00A2E340
	v_cmp_lt_u32_e64 s[40:41], v242, v65                       // 000000005520: D0C90028 000283F2
	v_add_u32_e32 v242, 64, v242                               // 000000005528: 69E5E4C0
	s_nop 0                                                    // 00000000552C: BF800000
	v_cndmask_b32_e64 v114, v64, v114, s[40:41]                // 000000005530: D1000072 00A2E540
	v_cmp_lt_u32_e64 s[40:41], v243, v65                       // 000000005538: D0C90028 000283F3
	v_add_u32_e32 v243, 64, v243                               // 000000005540: 69E7E6C0
	s_nop 0                                                    // 000000005544: BF800000
	v_cndmask_b32_e64 v115, v64, v115, s[40:41]                // 000000005548: D1000073 00A2E740
	v_cmp_lt_u32_e64 s[40:41], v240, v65                       // 000000005550: D0C90028 000283F0
	v_add_u32_e32 v240, 64, v240                               // 000000005558: 69E1E0C0
	s_nop 0                                                    // 00000000555C: BF800000
	v_cndmask_b32_e64 v116, v64, v116, s[40:41]                // 000000005560: D1000074 00A2E940
	v_cmp_lt_u32_e64 s[40:41], v241, v65                       // 000000005568: D0C90028 000283F1
	v_add_u32_e32 v241, 64, v241                               // 000000005570: 69E3E2C0
	s_nop 0                                                    // 000000005574: BF800000
	v_cndmask_b32_e64 v117, v64, v117, s[40:41]                // 000000005578: D1000075 00A2EB40
	v_cmp_lt_u32_e64 s[40:41], v242, v65                       // 000000005580: D0C90028 000283F2
	v_add_u32_e32 v242, 64, v242                               // 000000005588: 69E5E4C0
	s_nop 0                                                    // 00000000558C: BF800000
	v_cndmask_b32_e64 v118, v64, v118, s[40:41]                // 000000005590: D1000076 00A2ED40
	v_cmp_lt_u32_e64 s[40:41], v243, v65                       // 000000005598: D0C90028 000283F3
	v_add_u32_e32 v243, 64, v243                               // 0000000055A0: 69E7E6C0
	s_nop 0                                                    // 0000000055A4: BF800000
	v_cndmask_b32_e64 v119, v64, v119, s[40:41]                // 0000000055A8: D1000077 00A2EF40
	v_cmp_lt_u32_e64 s[40:41], v240, v65                       // 0000000055B0: D0C90028 000283F0
	v_add_u32_e32 v240, 64, v240                               // 0000000055B8: 69E1E0C0
	s_nop 0                                                    // 0000000055BC: BF800000
	v_cndmask_b32_e64 v120, v64, v120, s[40:41]                // 0000000055C0: D1000078 00A2F140
	v_cmp_lt_u32_e64 s[40:41], v241, v65                       // 0000000055C8: D0C90028 000283F1
	v_add_u32_e32 v241, 64, v241                               // 0000000055D0: 69E3E2C0
	s_nop 0                                                    // 0000000055D4: BF800000
	v_cndmask_b32_e64 v121, v64, v121, s[40:41]                // 0000000055D8: D1000079 00A2F340
	v_cmp_lt_u32_e64 s[40:41], v242, v65                       // 0000000055E0: D0C90028 000283F2
	v_add_u32_e32 v242, 64, v242                               // 0000000055E8: 69E5E4C0
	s_nop 0                                                    // 0000000055EC: BF800000
	v_cndmask_b32_e64 v122, v64, v122, s[40:41]                // 0000000055F0: D100007A 00A2F540
	v_cmp_lt_u32_e64 s[40:41], v243, v65                       // 0000000055F8: D0C90028 000283F3
	v_add_u32_e32 v243, 64, v243                               // 000000005600: 69E7E6C0
	s_nop 0                                                    // 000000005604: BF800000
	v_cndmask_b32_e64 v123, v64, v123, s[40:41]                // 000000005608: D100007B 00A2F740
	v_cmp_lt_u32_e64 s[40:41], v240, v65                       // 000000005610: D0C90028 000283F0
	v_add_u32_e32 v240, 64, v240                               // 000000005618: 69E1E0C0
	s_nop 0                                                    // 00000000561C: BF800000
	v_cndmask_b32_e64 v124, v64, v124, s[40:41]                // 000000005620: D100007C 00A2F940
	v_cmp_lt_u32_e64 s[40:41], v241, v65                       // 000000005628: D0C90028 000283F1
	v_add_u32_e32 v241, 64, v241                               // 000000005630: 69E3E2C0
	s_nop 0                                                    // 000000005634: BF800000
	v_cndmask_b32_e64 v125, v64, v125, s[40:41]                // 000000005638: D100007D 00A2FB40
	v_cmp_lt_u32_e64 s[40:41], v242, v65                       // 000000005640: D0C90028 000283F2
	v_add_u32_e32 v242, 64, v242                               // 000000005648: 69E5E4C0
	s_nop 0                                                    // 00000000564C: BF800000
	v_cndmask_b32_e64 v126, v64, v126, s[40:41]                // 000000005650: D100007E 00A2FD40
	v_cmp_lt_u32_e64 s[40:41], v243, v65                       // 000000005658: D0C90028 000283F3
	v_add_u32_e32 v243, 64, v243                               // 000000005660: 69E7E6C0
	s_nop 0                                                    // 000000005664: BF800000
	v_cndmask_b32_e64 v127, v64, v127, s[40:41]                // 000000005668: D100007F 00A2FF40
	v_mov_b32_e32 v48, v112                                    // 000000005670: 7E600370
	v_max3_f32 v48, v112, v113, v48                            // 000000005674: D1D30030 04C2E370
	v_max3_f32 v48, v114, v115, v48                            // 00000000567C: D1D30030 04C2E772
	v_max3_f32 v48, v116, v117, v48                            // 000000005684: D1D30030 04C2EB74
	v_max3_f32 v48, v118, v119, v48                            // 00000000568C: D1D30030 04C2EF76
	v_max3_f32 v48, v120, v121, v48                            // 000000005694: D1D30030 04C2F378
	v_max3_f32 v48, v122, v123, v48                            // 00000000569C: D1D30030 04C2F77A
	v_max3_f32 v48, v124, v125, v48                            // 0000000056A4: D1D30030 04C2FB7C
	v_max3_f32 v48, v126, v127, v48                            // 0000000056AC: D1D30030 04C2FF7E
	ds_write_b32 v8, v48 offset:16896                          // 0000000056B4: D81A4200 00003008
	v_mul_u32_u24_dpp v64, v17, v54 row_newbcast:1 row_mask:0xf bank_mask:0xf// 0000000056BC: 10806CFA FF015111
	v_mul_u32_u24_dpp v65, v17, v54 row_newbcast:5 row_mask:0xf bank_mask:0xf// 0000000056C4: 10826CFA FF015511
	v_mul_u32_u24_dpp v66, v17, v54 row_newbcast:9 row_mask:0xf bank_mask:0xf// 0000000056CC: 10846CFA FF015911
	v_mul_u32_u24_dpp v67, v17, v54 row_newbcast:13 row_mask:0xf bank_mask:0xf// 0000000056D4: 10866CFA FF015D11
	v_add_u32_e32 v34, v64, v6                                 // 0000000056DC: 68440D40
	v_add_u32_e32 v35, v65, v6                                 // 0000000056E0: 68460D41
	v_add_u32_e32 v36, v66, v6                                 // 0000000056E4: 68480D42
	v_add_u32_e32 v37, v67, v6                                 // 0000000056E8: 684A0D43
	v_mul_f32_e32 v208, v49, v208                              // 0000000056EC: 0BA1A131
	v_mul_f32_e32 v209, v49, v209                              // 0000000056F0: 0BA3A331
	v_mul_f32_e32 v210, v49, v210                              // 0000000056F4: 0BA5A531
	v_mul_f32_e32 v211, v49, v211                              // 0000000056F8: 0BA7A731
	v_mul_f32_e32 v212, v49, v212                              // 0000000056FC: 0BA9A931
	v_mul_f32_e32 v213, v49, v213                              // 000000005700: 0BABAB31
	v_mul_f32_e32 v214, v49, v214                              // 000000005704: 0BADAD31
	v_mul_f32_e32 v215, v49, v215                              // 000000005708: 0BAFAF31
	s_waitcnt lgkmcnt(0)                                       // 00000000570C: BF8CC07F
	s_barrier                                                  // 000000005710: BF8A0000
	ds_read_b32 v64, v7 offset:16896                           // 000000005714: D86C4200 40000007
	ds_read_b32 v65, v7 offset:16960                           // 00000000571C: D86C4240 41000007
	ds_read_b32 v66, v7 offset:17024                           // 000000005724: D86C4280 42000007
	ds_read_b32 v67, v7 offset:17088                           // 00000000572C: D86C42C0 43000007
	ds_read_b32 v68, v7 offset:17152                           // 000000005734: D86C4300 44000007
	ds_read_b32 v69, v7 offset:17216                           // 00000000573C: D86C4340 45000007
	ds_read_b32 v70, v7 offset:17280                           // 000000005744: D86C4380 46000007
	ds_read_b32 v71, v7 offset:17344                           // 00000000574C: D86C43C0 47000007
	ds_read_b32 v72, v7 offset:17408                           // 000000005754: D86C4400 48000007
	ds_read_b32 v73, v7 offset:17472                           // 00000000575C: D86C4440 49000007
	ds_read_b32 v74, v7 offset:17536                           // 000000005764: D86C4480 4A000007
	ds_read_b32 v75, v7 offset:17600                           // 00000000576C: D86C44C0 4B000007
	ds_read_b32 v76, v7 offset:17664                           // 000000005774: D86C4500 4C000007
	ds_read_b32 v77, v7 offset:17728                           // 00000000577C: D86C4540 4D000007
	ds_read_b32 v78, v7 offset:17792                           // 000000005784: D86C4580 4E000007
	ds_read_b32 v79, v7 offset:17856                           // 00000000578C: D86C45C0 4F000007
	v_cvt_f32_i32_e32 v176, v176                               // 000000005794: 7F600BB0
	v_cvt_f32_i32_e32 v177, v177                               // 000000005798: 7F620BB1
	v_cvt_f32_i32_e32 v178, v178                               // 00000000579C: 7F640BB2
	v_cvt_f32_i32_e32 v179, v179                               // 0000000057A0: 7F660BB3
	v_cvt_f32_i32_e32 v180, v180                               // 0000000057A4: 7F680BB4
	v_cvt_f32_i32_e32 v181, v181                               // 0000000057A8: 7F6A0BB5
	v_cvt_f32_i32_e32 v182, v182                               // 0000000057AC: 7F6C0BB6
	v_cvt_f32_i32_e32 v183, v183                               // 0000000057B0: 7F6E0BB7
	v_mul_f32_e32 v176, v44, v176                              // 0000000057B4: 0B61612C
	v_mul_f32_e32 v177, v44, v177                              // 0000000057B8: 0B63632C
	v_mul_f32_e32 v178, v44, v178                              // 0000000057BC: 0B65652C
	v_mul_f32_e32 v179, v44, v179                              // 0000000057C0: 0B67672C
	v_mul_f32_e32 v180, v44, v180                              // 0000000057C4: 0B69692C
	v_mul_f32_e32 v181, v44, v181                              // 0000000057C8: 0B6B6B2C
	v_mul_f32_e32 v182, v44, v182                              // 0000000057CC: 0B6D6D2C
	v_mul_f32_e32 v183, v44, v183                              // 0000000057D0: 0B6F6F2C
	s_waitcnt lgkmcnt(0)                                       // 0000000057D4: BF8CC07F
	v_max3_f32 v48, v64, v65, v48                              // 0000000057D8: D1D30030 04C28340
	v_max3_f32 v48, v66, v67, v48                              // 0000000057E0: D1D30030 04C28742
	v_max3_f32 v48, v68, v69, v48                              // 0000000057E8: D1D30030 04C28B44
	v_max3_f32 v48, v70, v71, v48                              // 0000000057F0: D1D30030 04C28F46
	v_max3_f32 v48, v72, v73, v48                              // 0000000057F8: D1D30030 04C29348
	v_max3_f32 v48, v74, v75, v48                              // 000000005800: D1D30030 04C2974A
	v_max3_f32 v48, v76, v77, v48                              // 000000005808: D1D30030 04C29B4C
	v_max3_f32 v48, v78, v79, v48                              // 000000005810: D1D30030 04C29F4E
	v_mov_b32_e32 v64, 0xff800000                              // 000000005818: 7E8002FF FF800000
	v_cmp_eq_u32_e64 s[40:41], v64, v11                        // 000000005820: D0CA0028 00021740
	s_nop 1                                                    // 000000005828: BF800001
	v_max_f32_e32 v15, v48, v11                                // 00000000582C: 161E1730
	v_mul_f32_e32 v53, s64, v15                                // 000000005830: 0A6A1E40
	v_fma_f32 v112, v112, s64, -v53                            // 000000005834: D1CB0070 84D48170
	v_fma_f32 v113, v113, s64, -v53                            // 00000000583C: D1CB0071 84D48171
	v_fma_f32 v114, v114, s64, -v53                            // 000000005844: D1CB0072 84D48172
	v_fma_f32 v115, v115, s64, -v53                            // 00000000584C: D1CB0073 84D48173
	v_fma_f32 v116, v116, s64, -v53                            // 000000005854: D1CB0074 84D48174
	v_fma_f32 v117, v117, s64, -v53                            // 00000000585C: D1CB0075 84D48175
	v_fma_f32 v118, v118, s64, -v53                            // 000000005864: D1CB0076 84D48176
	v_fma_f32 v119, v119, s64, -v53                            // 00000000586C: D1CB0077 84D48177
	v_fma_f32 v120, v120, s64, -v53                            // 000000005874: D1CB0078 84D48178
	v_fma_f32 v121, v121, s64, -v53                            // 00000000587C: D1CB0079 84D48179
	v_fma_f32 v122, v122, s64, -v53                            // 000000005884: D1CB007A 84D4817A
	v_fma_f32 v123, v123, s64, -v53                            // 00000000588C: D1CB007B 84D4817B
	v_fma_f32 v124, v124, s64, -v53                            // 000000005894: D1CB007C 84D4817C
	v_fma_f32 v125, v125, s64, -v53                            // 00000000589C: D1CB007D 84D4817D
	v_fma_f32 v126, v126, s64, -v53                            // 0000000058A4: D1CB007E 84D4817E
	v_fma_f32 v127, v127, s64, -v53                            // 0000000058AC: D1CB007F 84D4817F
	v_exp_f32_e32 v112, v112                                   // 0000000058B4: 7EE04170
	v_exp_f32_e32 v113, v113                                   // 0000000058B8: 7EE24171
	v_exp_f32_e32 v114, v114                                   // 0000000058BC: 7EE44172
	v_exp_f32_e32 v115, v115                                   // 0000000058C0: 7EE64173
	v_exp_f32_e32 v116, v116                                   // 0000000058C4: 7EE84174
	v_exp_f32_e32 v117, v117                                   // 0000000058C8: 7EEA4175
	v_exp_f32_e32 v118, v118                                   // 0000000058CC: 7EEC4176
	v_exp_f32_e32 v119, v119                                   // 0000000058D0: 7EEE4177
	v_exp_f32_e32 v120, v120                                   // 0000000058D4: 7EF04178
	v_exp_f32_e32 v121, v121                                   // 0000000058D8: 7EF24179
	v_exp_f32_e32 v122, v122                                   // 0000000058DC: 7EF4417A
	v_exp_f32_e32 v123, v123                                   // 0000000058E0: 7EF6417B
	v_exp_f32_e32 v124, v124                                   // 0000000058E4: 7EF8417C
	v_exp_f32_e32 v125, v125                                   // 0000000058E8: 7EFA417D
	v_exp_f32_e32 v126, v126                                   // 0000000058EC: 7EFC417E
	v_exp_f32_e32 v127, v127                                   // 0000000058F0: 7EFE417F
	v_mul_f32_dpp v240, v252, v112 quad_perm:[0,0,0,0] row_mask:0xf bank_mask:0xf// 0000000058F4: 0BE0E0FA FF0000FC
	v_mul_f32_dpp v241, v252, v113 quad_perm:[1,1,1,1] row_mask:0xf bank_mask:0xf// 0000000058FC: 0BE2E2FA FF0055FC
	v_mul_f32_dpp v242, v252, v114 quad_perm:[2,2,2,2] row_mask:0xf bank_mask:0xf// 000000005904: 0BE4E4FA FF00AAFC
	v_mul_f32_dpp v243, v252, v115 quad_perm:[3,3,3,3] row_mask:0xf bank_mask:0xf// 00000000590C: 0BE6E6FA FF00FFFC
	v_mul_f32_dpp v244, v253, v116 quad_perm:[0,0,0,0] row_mask:0xf bank_mask:0xf// 000000005914: 0BE8E8FA FF0000FD
	v_mul_f32_dpp v245, v253, v117 quad_perm:[1,1,1,1] row_mask:0xf bank_mask:0xf// 00000000591C: 0BEAEAFA FF0055FD
	v_mul_f32_dpp v246, v253, v118 quad_perm:[2,2,2,2] row_mask:0xf bank_mask:0xf// 000000005924: 0BECECFA FF00AAFD
	v_mul_f32_dpp v247, v253, v119 quad_perm:[3,3,3,3] row_mask:0xf bank_mask:0xf// 00000000592C: 0BEEEEFA FF00FFFD
	v_mul_f32_dpp v248, v254, v120 quad_perm:[0,0,0,0] row_mask:0xf bank_mask:0xf// 000000005934: 0BF0F0FA FF0000FE
	v_mul_f32_dpp v249, v254, v121 quad_perm:[1,1,1,1] row_mask:0xf bank_mask:0xf// 00000000593C: 0BF2F2FA FF0055FE
	v_mul_f32_dpp v250, v254, v122 quad_perm:[2,2,2,2] row_mask:0xf bank_mask:0xf// 000000005944: 0BF4F4FA FF00AAFE
	v_mul_f32_dpp v251, v254, v123 quad_perm:[3,3,3,3] row_mask:0xf bank_mask:0xf// 00000000594C: 0BF6F6FA FF00FFFE
	v_mul_f32_dpp v252, v255, v124 quad_perm:[0,0,0,0] row_mask:0xf bank_mask:0xf// 000000005954: 0BF8F8FA FF0000FF
	v_mul_f32_dpp v253, v255, v125 quad_perm:[1,1,1,1] row_mask:0xf bank_mask:0xf// 00000000595C: 0BFAFAFA FF0055FF
	v_mul_f32_dpp v254, v255, v126 quad_perm:[2,2,2,2] row_mask:0xf bank_mask:0xf// 000000005964: 0BFCFCFA FF00AAFF
	v_mul_f32_dpp v255, v255, v127 quad_perm:[3,3,3,3] row_mask:0xf bank_mask:0xf// 00000000596C: 0BFEFEFA FF00FFFF
	v_mov_b32_e32 v48, 0x358637bd                              // 000000005974: 7E6002FF 358637BD
	v_max3_f32 v48, |v240|, |v241|, v48                        // 00000000597C: D1D30330 04C3E3F0
	v_max3_f32 v48, |v242|, |v243|, v48                        // 000000005984: D1D30330 04C3E7F2
	v_max3_f32 v48, |v244|, |v245|, v48                        // 00000000598C: D1D30330 04C3EBF4
	v_max3_f32 v48, |v246|, |v247|, v48                        // 000000005994: D1D30330 04C3EFF6
	v_max3_f32 v48, |v248|, |v249|, v48                        // 00000000599C: D1D30330 04C3F3F8
	v_max3_f32 v48, |v250|, |v251|, v48                        // 0000000059A4: D1D30330 04C3F7FA
	v_max3_f32 v48, |v252|, |v253|, v48                        // 0000000059AC: D1D30330 04C3FBFC
	v_max3_f32 v48, |v254|, |v255|, v48                        // 0000000059B4: D1D30330 04C3FFFE
	ds_write_b32 v8, v48 offset:20992                          // 0000000059BC: D81A5200 00003008
	v_sub_f32_e32 v49, v11, v15                                // 0000000059C4: 04621F0B
	v_cndmask_b32_e64 v49, v49, 0, s[40:41]                    // 0000000059C8: D1000031 00A10131
	v_mov_b32_e32 v11, v15                                     // 0000000059D0: 7E16030F
	v_mul_f32_e32 v49, s64, v49                                // 0000000059D4: 0A626240
	v_exp_f32_e32 v49, v49                                     // 0000000059D8: 7E624131
	s_waitcnt lgkmcnt(0)                                       // 0000000059DC: BF8CC07F
	s_barrier                                                  // 0000000059E0: BF8A0000
	ds_read_b32 v64, v7 offset:20992                           // 0000000059E4: D86C5200 40000007
	ds_read_b32 v65, v7 offset:21056                           // 0000000059EC: D86C5240 41000007
	ds_read_b32 v66, v7 offset:21120                           // 0000000059F4: D86C5280 42000007
	ds_read_b32 v67, v7 offset:21184                           // 0000000059FC: D86C52C0 43000007
	ds_read_b32 v68, v7 offset:21248                           // 000000005A04: D86C5300 44000007
	ds_read_b32 v69, v7 offset:21312                           // 000000005A0C: D86C5340 45000007
	ds_read_b32 v70, v7 offset:21376                           // 000000005A14: D86C5380 46000007
	ds_read_b32 v71, v7 offset:21440                           // 000000005A1C: D86C53C0 47000007
	ds_read_b32 v72, v7 offset:21504                           // 000000005A24: D86C5400 48000007
	ds_read_b32 v73, v7 offset:21568                           // 000000005A2C: D86C5440 49000007
	ds_read_b32 v74, v7 offset:21632                           // 000000005A34: D86C5480 4A000007
	ds_read_b32 v75, v7 offset:21696                           // 000000005A3C: D86C54C0 4B000007
	ds_read_b32 v76, v7 offset:21760                           // 000000005A44: D86C5500 4C000007
	ds_read_b32 v77, v7 offset:21824                           // 000000005A4C: D86C5540 4D000007
	ds_read_b32 v78, v7 offset:21888                           // 000000005A54: D86C5580 4E000007
	ds_read_b32 v79, v7 offset:21952                           // 000000005A5C: D86C55C0 4F000007
	v_mul_f32_e32 v38, v49, v38                                // 000000005A64: 0A4C4D31
	v_mov_b32_e32 v15, v112                                    // 000000005A68: 7E1E0370
	v_add_f32_e32 v15, v113, v15                               // 000000005A6C: 021E1F71
	v_add_f32_e32 v15, v114, v15                               // 000000005A70: 021E1F72
	v_add_f32_e32 v15, v115, v15                               // 000000005A74: 021E1F73
	v_add_f32_e32 v15, v116, v15                               // 000000005A78: 021E1F74
	v_add_f32_e32 v15, v117, v15                               // 000000005A7C: 021E1F75
	v_add_f32_e32 v15, v118, v15                               // 000000005A80: 021E1F76
	v_add_f32_e32 v15, v119, v15                               // 000000005A84: 021E1F77
	v_add_f32_e32 v15, v120, v15                               // 000000005A88: 021E1F78
	v_add_f32_e32 v15, v121, v15                               // 000000005A8C: 021E1F79
	v_add_f32_e32 v15, v122, v15                               // 000000005A90: 021E1F7A
	v_add_f32_e32 v15, v123, v15                               // 000000005A94: 021E1F7B
	v_add_f32_e32 v15, v124, v15                               // 000000005A98: 021E1F7C
	v_add_f32_e32 v15, v125, v15                               // 000000005A9C: 021E1F7D
	v_add_f32_e32 v15, v126, v15                               // 000000005AA0: 021E1F7E
	v_add_f32_e32 v15, v127, v15                               // 000000005AA4: 021E1F7F
	v_add_f32_e32 v38, v15, v38                                // 000000005AA8: 024C4D0F
	s_waitcnt lgkmcnt(0)                                       // 000000005AAC: BF8CC07F
	v_max3_f32 v48, |v64|, |v65|, v48                          // 000000005AB0: D1D30330 04C28340
	v_max3_f32 v48, |v66|, |v67|, v48                          // 000000005AB8: D1D30330 04C28742
	v_max3_f32 v48, |v68|, |v69|, v48                          // 000000005AC0: D1D30330 04C28B44
	v_max3_f32 v48, |v70|, |v71|, v48                          // 000000005AC8: D1D30330 04C28F46
	v_max3_f32 v48, |v72|, |v73|, v48                          // 000000005AD0: D1D30330 04C29348
	v_max3_f32 v48, |v74|, |v75|, v48                          // 000000005AD8: D1D30330 04C2974A
	v_max3_f32 v48, |v76|, |v77|, v48                          // 000000005AE0: D1D30330 04C29B4C
	v_max3_f32 v48, |v78|, |v79|, v48                          // 000000005AE8: D1D30330 04C29F4E
	s_nop 2                                                    // 000000005AF0: BF800002
	v_rcp_f32_e32 v48, v48                                     // 000000005AF4: 7E604530
	s_nop 1                                                    // 000000005AF8: BF800001
	v_mul_f32_e32 v48, 0x42fe0000, v48                         // 000000005AFC: 0A6060FF 42FE0000
	v_mul_f32_e32 v112, v48, v240                              // 000000005B04: 0AE1E130
	v_mul_f32_e32 v113, v48, v241                              // 000000005B08: 0AE3E330
	v_mul_f32_e32 v114, v48, v242                              // 000000005B0C: 0AE5E530
	v_mul_f32_e32 v115, v48, v243                              // 000000005B10: 0AE7E730
	v_mul_f32_e32 v116, v48, v244                              // 000000005B14: 0AE9E930
	v_mul_f32_e32 v117, v48, v245                              // 000000005B18: 0AEBEB30
	v_mul_f32_e32 v118, v48, v246                              // 000000005B1C: 0AEDED30
	v_mul_f32_e32 v119, v48, v247                              // 000000005B20: 0AEFEF30
	v_mul_f32_e32 v120, v48, v248                              // 000000005B24: 0AF1F130
	v_mul_f32_e32 v121, v48, v249                              // 000000005B28: 0AF3F330
	v_mul_f32_e32 v122, v48, v250                              // 000000005B2C: 0AF5F530
	v_mul_f32_e32 v123, v48, v251                              // 000000005B30: 0AF7F730
	v_mul_f32_e32 v124, v48, v252                              // 000000005B34: 0AF9F930
	v_mul_f32_e32 v125, v48, v253                              // 000000005B38: 0AFBFB30
	v_mul_f32_e32 v126, v48, v254                              // 000000005B3C: 0AFDFD30
	v_mul_f32_e32 v127, v48, v255                              // 000000005B40: 0AFFFF30
	v_cvt_i32_f32_e32 v112, v112                               // 000000005B44: 7EE01170
	v_cvt_i32_f32_e32 v113, v113                               // 000000005B48: 7EE21171
	v_cvt_i32_f32_e32 v114, v114                               // 000000005B4C: 7EE41172
	v_cvt_i32_f32_e32 v115, v115                               // 000000005B50: 7EE61173
	v_cvt_i32_f32_e32 v116, v116                               // 000000005B54: 7EE81174
	v_cvt_i32_f32_e32 v117, v117                               // 000000005B58: 7EEA1175
	v_cvt_i32_f32_e32 v118, v118                               // 000000005B5C: 7EEC1176
	v_cvt_i32_f32_e32 v119, v119                               // 000000005B60: 7EEE1177
	v_cvt_i32_f32_e32 v120, v120                               // 000000005B64: 7EF01178
	v_cvt_i32_f32_e32 v121, v121                               // 000000005B68: 7EF21179
	v_cvt_i32_f32_e32 v122, v122                               // 000000005B6C: 7EF4117A
	v_cvt_i32_f32_e32 v123, v123                               // 000000005B70: 7EF6117B
	v_cvt_i32_f32_e32 v124, v124                               // 000000005B74: 7EF8117C
	v_cvt_i32_f32_e32 v125, v125                               // 000000005B78: 7EFA117D
	v_cvt_i32_f32_e32 v126, v126                               // 000000005B7C: 7EFC117E
	v_cvt_i32_f32_e32 v127, v127                               // 000000005B80: 7EFE117F
	v_perm_b32 v112, v113, v112, s53                           // 000000005B84: D1ED0070 00D6E171
	v_perm_b32 v112, v114, v112, s54                           // 000000005B8C: D1ED0070 00DAE172
	v_perm_b32 v112, v115, v112, s55                           // 000000005B94: D1ED0070 00DEE173
	v_perm_b32 v113, v117, v116, s53                           // 000000005B9C: D1ED0071 00D6E975
	v_perm_b32 v113, v118, v113, s54                           // 000000005BA4: D1ED0071 00DAE376
	v_perm_b32 v113, v119, v113, s55                           // 000000005BAC: D1ED0071 00DEE377
	v_perm_b32 v114, v121, v120, s53                           // 000000005BB4: D1ED0072 00D6F179
	v_perm_b32 v114, v122, v114, s54                           // 000000005BBC: D1ED0072 00DAE57A
	v_perm_b32 v114, v123, v114, s55                           // 000000005BC4: D1ED0072 00DEE57B
	v_perm_b32 v115, v125, v124, s53                           // 000000005BCC: D1ED0073 00D6F97D
	v_perm_b32 v115, v126, v115, s54                           // 000000005BD4: D1ED0073 00DAE77E
	v_perm_b32 v115, v127, v115, s55                           // 000000005BDC: D1ED0073 00DEE77F
	ds_write_b32 v10, v112 offset:25088                        // 000000005BE4: D81A6200 0000700A
	ds_write_b32 v10, v113 offset:26112                        // 000000005BEC: D81A6600 0000710A
	ds_write_b32 v10, v114 offset:27136                        // 000000005BF4: D81A6A00 0000720A
	ds_write_b32 v10, v115 offset:28160                        // 000000005BFC: D81A6E00 0000730A
	v_add_f32_e32 v208, v208, v176                             // 000000005C04: 03A161D0
	v_add_f32_e32 v209, v209, v177                             // 000000005C08: 03A363D1
	v_add_f32_e32 v210, v210, v178                             // 000000005C0C: 03A565D2
	v_add_f32_e32 v211, v211, v179                             // 000000005C10: 03A767D3
	v_add_f32_e32 v212, v212, v180                             // 000000005C14: 03A969D4
	v_add_f32_e32 v213, v213, v181                             // 000000005C18: 03AB6BD5
	v_add_f32_e32 v214, v214, v182                             // 000000005C1C: 03AD6DD6
	v_add_f32_e32 v215, v215, v183                             // 000000005C20: 03AF6FD7
	v_rcp_f32_e32 v44, v48                                     // 000000005C24: 7E584530
	s_waitcnt lgkmcnt(0)                                       // 000000005C28: BF8CC07F
	s_barrier                                                  // 000000005C2C: BF8A0000
	ds_read_b64 v[112:113], v9 offset:25088                    // 000000005C30: D8EC6200 70000009
	ds_read_b64 v[114:115], v9 offset:25216                    // 000000005C38: D8EC6280 72000009
	ds_read_b64 v[116:117], v9 offset:26112                    // 000000005C40: D8EC6600 74000009
	ds_read_b64 v[118:119], v9 offset:26240                    // 000000005C48: D8EC6680 76000009
	ds_read_b64 v[120:121], v9 offset:27136                    // 000000005C50: D8EC6A00 78000009
	ds_read_b64 v[122:123], v9 offset:27264                    // 000000005C58: D8EC6A80 7A000009
	ds_read_b64 v[124:125], v9 offset:28160                    // 000000005C60: D8EC6E00 7C000009
	ds_read_b64 v[126:127], v9 offset:28288                    // 000000005C68: D8EC6E80 7E000009
	s_waitcnt vmcnt(0)                                         // 000000005C70: BF8C0F70
	s_barrier                                                  // 000000005C74: BF8A0000
	s_waitcnt lgkmcnt(7)                                       // 000000005C78: BF8CC77F
	v_mfma_i32_16x16x32_i8 v[176:179], a[64:65], v[112:113], 0 // 000000005C7C: D3D700B0 0A02E140
	s_waitcnt lgkmcnt(6)                                       // 000000005C84: BF8CC67F
	v_mfma_i32_16x16x32_i8 v[176:179], a[66:67], v[114:115], v[176:179]// 000000005C88: D3D700B0 0EC2E542
	s_waitcnt lgkmcnt(5)                                       // 000000005C90: BF8CC57F
	v_mfma_i32_16x16x32_i8 v[176:179], a[68:69], v[116:117], v[176:179]// 000000005C94: D3D700B0 0EC2E944
	s_waitcnt lgkmcnt(4)                                       // 000000005C9C: BF8CC47F
	v_mfma_i32_16x16x32_i8 v[176:179], a[70:71], v[118:119], v[176:179]// 000000005CA0: D3D700B0 0EC2ED46
	s_waitcnt lgkmcnt(3)                                       // 000000005CA8: BF8CC37F
	v_mfma_i32_16x16x32_i8 v[176:179], a[72:73], v[120:121], v[176:179]// 000000005CAC: D3D700B0 0EC2F148
	s_waitcnt lgkmcnt(2)                                       // 000000005CB4: BF8CC27F
	v_mfma_i32_16x16x32_i8 v[176:179], a[74:75], v[122:123], v[176:179]// 000000005CB8: D3D700B0 0EC2F54A
	s_waitcnt lgkmcnt(1)                                       // 000000005CC0: BF8CC17F
	v_mfma_i32_16x16x32_i8 v[176:179], a[76:77], v[124:125], v[176:179]// 000000005CC4: D3D700B0 0EC2F94C
	s_waitcnt lgkmcnt(0)                                       // 000000005CCC: BF8CC07F
	v_mfma_i32_16x16x32_i8 v[176:179], a[78:79], v[126:127], v[176:179]// 000000005CD0: D3D700B0 0EC2FD4E
	v_mfma_i32_16x16x32_i8 v[180:183], a[80:81], v[112:113], 0 // 000000005CD8: D3D700B4 0A02E150
	v_mfma_i32_16x16x32_i8 v[180:183], a[82:83], v[114:115], v[180:183]// 000000005CE0: D3D700B4 0ED2E552
	v_mfma_i32_16x16x32_i8 v[180:183], a[84:85], v[116:117], v[180:183]// 000000005CE8: D3D700B4 0ED2E954
	v_mfma_i32_16x16x32_i8 v[180:183], a[86:87], v[118:119], v[180:183]// 000000005CF0: D3D700B4 0ED2ED56
	v_mfma_i32_16x16x32_i8 v[180:183], a[88:89], v[120:121], v[180:183]// 000000005CF8: D3D700B4 0ED2F158
	v_mfma_i32_16x16x32_i8 v[180:183], a[90:91], v[122:123], v[180:183]// 000000005D00: D3D700B4 0ED2F55A
	v_mfma_i32_16x16x32_i8 v[180:183], a[92:93], v[124:125], v[180:183]// 000000005D08: D3D700B4 0ED2F95C
	v_mfma_i32_16x16x32_i8 v[180:183], a[94:95], v[126:127], v[180:183]// 000000005D10: D3D700B4 0ED2FD5E
	s_nop 4                                                    // 000000005D18: BF800004
	s_branch label_1176                                        // 000000005D1C: BF8202AE

0000000000005d20 <label_0EC8>:
	s_waitcnt vmcnt(8) lgkmcnt(0)                              // 000000005D20: BF8C0078
	s_barrier                                                  // 000000005D24: BF8A0000
	v_mfma_i32_16x16x32_i8 v[112:115], a[32:33], v[80:81], 0   // 000000005D28: D3D70070 0A02A120
	v_mfma_i32_16x16x32_i8 v[112:115], a[34:35], v[82:83], v[112:115]// 000000005D30: D3D70070 0DC2A522
	v_mfma_i32_16x16x32_i8 v[112:115], a[36:37], v[84:85], v[112:115]// 000000005D38: D3D70070 0DC2A924
	v_mfma_i32_16x16x32_i8 v[112:115], a[38:39], v[86:87], v[112:115]// 000000005D40: D3D70070 0DC2AD26
	v_mfma_i32_16x16x32_i8 v[116:119], a[40:41], v[80:81], 0   // 000000005D48: D3D70074 0A02A128
	v_mfma_i32_16x16x32_i8 v[116:119], a[42:43], v[82:83], v[116:119]// 000000005D50: D3D70074 0DD2A52A
	v_mfma_i32_16x16x32_i8 v[116:119], a[44:45], v[84:85], v[116:119]// 000000005D58: D3D70074 0DD2A92C
	v_mfma_i32_16x16x32_i8 v[116:119], a[46:47], v[86:87], v[116:119]// 000000005D60: D3D70074 0DD2AD2E
	v_mfma_i32_16x16x32_i8 v[120:123], a[48:49], v[80:81], 0   // 000000005D68: D3D70078 0A02A130
	v_mfma_i32_16x16x32_i8 v[120:123], a[50:51], v[82:83], v[120:123]// 000000005D70: D3D70078 0DE2A532
	v_mfma_i32_16x16x32_i8 v[120:123], a[52:53], v[84:85], v[120:123]// 000000005D78: D3D70078 0DE2A934
	v_mfma_i32_16x16x32_i8 v[120:123], a[54:55], v[86:87], v[120:123]// 000000005D80: D3D70078 0DE2AD36
	v_mfma_i32_16x16x32_i8 v[124:127], a[56:57], v[80:81], 0   // 000000005D88: D3D7007C 0A02A138
	v_mfma_i32_16x16x32_i8 v[124:127], a[58:59], v[82:83], v[124:127]// 000000005D90: D3D7007C 0DF2A53A
	v_mfma_i32_16x16x32_i8 v[124:127], a[60:61], v[84:85], v[124:127]// 000000005D98: D3D7007C 0DF2A93C
	v_mfma_i32_16x16x32_i8 v[124:127], a[62:63], v[86:87], v[124:127]// 000000005DA0: D3D7007C 0DF2AD3E
	v_mov_b32_dpp v64, v43 row_shr:4 row_mask:0xf bank_mask:0xf// 000000005DA8: 7E8002FA FF01142B
	v_mov_b32_dpp v65, v43 row_shl:4 row_mask:0xf bank_mask:0xf// 000000005DB0: 7E8202FA FF01042B
	v_cndmask_b32_e64 v248, v43, v64, s[44:45]                 // 000000005DB8: D10000F8 00B2812B
	v_cndmask_b32_e64 v249, v65, v43, s[44:45]                 // 000000005DC0: D10000F9 00B25741
	v_mov_b32_dpp v64, v248 row_shr:8 row_mask:0xf bank_mask:0xf// 000000005DC8: 7E8002FA FF0118F8
	v_mov_b32_dpp v65, v248 row_shl:8 row_mask:0xf bank_mask:0xf// 000000005DD0: 7E8202FA FF0108F8
	v_mov_b32_dpp v66, v249 row_shr:8 row_mask:0xf bank_mask:0xf// 000000005DD8: 7E8402FA FF0118F9
	v_mov_b32_dpp v67, v249 row_shl:8 row_mask:0xf bank_mask:0xf// 000000005DE0: 7E8602FA FF0108F9
	v_mov_b32_e32 v68, v248                                    // 000000005DE8: 7E8803F8
	v_mov_b32_e32 v69, v249                                    // 000000005DEC: 7E8A03F9
	v_cndmask_b32_e64 v248, v68, v64, s[42:43]                 // 000000005DF0: D10000F8 00AA8144
	v_cndmask_b32_e64 v250, v68, v65, s[78:79]                 // 000000005DF8: D10000FA 013A8344
	v_cndmask_b32_e64 v249, v69, v66, s[42:43]                 // 000000005E00: D10000F9 00AA8545
	v_cndmask_b32_e64 v251, v69, v67, s[78:79]                 // 000000005E08: D10000FB 013A8745
	v_mov_b32_dpp v64, v58 row_shr:4 row_mask:0xf bank_mask:0xf// 000000005E10: 7E8002FA FF01143A
	v_mov_b32_dpp v65, v58 row_shl:4 row_mask:0xf bank_mask:0xf// 000000005E18: 7E8202FA FF01043A
	v_cndmask_b32_e64 v252, v58, v64, s[44:45]                 // 000000005E20: D10000FC 00B2813A
	v_cndmask_b32_e64 v253, v65, v58, s[44:45]                 // 000000005E28: D10000FD 00B27541
	v_mov_b32_dpp v64, v252 row_shr:8 row_mask:0xf bank_mask:0xf// 000000005E30: 7E8002FA FF0118FC
	v_mov_b32_dpp v65, v252 row_shl:8 row_mask:0xf bank_mask:0xf// 000000005E38: 7E8202FA FF0108FC
	v_mov_b32_dpp v66, v253 row_shr:8 row_mask:0xf bank_mask:0xf// 000000005E40: 7E8402FA FF0118FD
	v_mov_b32_dpp v67, v253 row_shl:8 row_mask:0xf bank_mask:0xf// 000000005E48: 7E8602FA FF0108FD
	v_mov_b32_e32 v68, v252                                    // 000000005E50: 7E8803FC
	v_mov_b32_e32 v69, v253                                    // 000000005E54: 7E8A03FD
	v_cndmask_b32_e64 v252, v68, v64, s[42:43]                 // 000000005E58: D10000FC 00AA8144
	v_cndmask_b32_e64 v254, v68, v65, s[78:79]                 // 000000005E60: D10000FE 013A8344
	v_cndmask_b32_e64 v253, v69, v66, s[42:43]                 // 000000005E68: D10000FD 00AA8545
	v_cndmask_b32_e64 v255, v69, v67, s[78:79]                 // 000000005E70: D10000FF 013A8745
	v_cvt_f32_i32_e32 v112, v112                               // 000000005E78: 7EE00B70
	v_cvt_f32_i32_e32 v113, v113                               // 000000005E7C: 7EE20B71
	v_cvt_f32_i32_e32 v114, v114                               // 000000005E80: 7EE40B72
	v_cvt_f32_i32_e32 v115, v115                               // 000000005E84: 7EE60B73
	v_cvt_f32_i32_e32 v116, v116                               // 000000005E88: 7EE80B74
	v_cvt_f32_i32_e32 v117, v117                               // 000000005E8C: 7EEA0B75
	v_cvt_f32_i32_e32 v118, v118                               // 000000005E90: 7EEC0B76
	v_cvt_f32_i32_e32 v119, v119                               // 000000005E94: 7EEE0B77
	v_cvt_f32_i32_e32 v120, v120                               // 000000005E98: 7EF00B78
	v_cvt_f32_i32_e32 v121, v121                               // 000000005E9C: 7EF20B79
	v_cvt_f32_i32_e32 v122, v122                               // 000000005EA0: 7EF40B7A
	v_cvt_f32_i32_e32 v123, v123                               // 000000005EA4: 7EF60B7B
	v_cvt_f32_i32_e32 v124, v124                               // 000000005EA8: 7EF80B7C
	v_cvt_f32_i32_e32 v125, v125                               // 000000005EAC: 7EFA0B7D
	v_cvt_f32_i32_e32 v126, v126                               // 000000005EB0: 7EFC0B7E
	v_cvt_f32_i32_e32 v127, v127                               // 000000005EB4: 7EFE0B7F
	v_mul_f32_e32 v112, v18, v112                              // 000000005EB8: 0AE0E112
	v_mul_f32_e32 v113, v18, v113                              // 000000005EBC: 0AE2E312
	v_mul_f32_e32 v114, v18, v114                              // 000000005EC0: 0AE4E512
	v_mul_f32_e32 v115, v18, v115                              // 000000005EC4: 0AE6E712
	v_mul_f32_e32 v116, v18, v116                              // 000000005EC8: 0AE8E912
	v_mul_f32_e32 v117, v18, v117                              // 000000005ECC: 0AEAEB12
	v_mul_f32_e32 v118, v18, v118                              // 000000005ED0: 0AECED12
	v_mul_f32_e32 v119, v18, v119                              // 000000005ED4: 0AEEEF12
	v_mul_f32_e32 v120, v18, v120                              // 000000005ED8: 0AF0F112
	v_mul_f32_e32 v121, v18, v121                              // 000000005EDC: 0AF2F312
	v_mul_f32_e32 v122, v18, v122                              // 000000005EE0: 0AF4F512
	v_mul_f32_e32 v123, v18, v123                              // 000000005EE4: 0AF6F712
	v_mul_f32_e32 v124, v18, v124                              // 000000005EE8: 0AF8F912
	v_mul_f32_e32 v125, v18, v125                              // 000000005EEC: 0AFAFB12
	v_mul_f32_e32 v126, v18, v126                              // 000000005EF0: 0AFCFD12
	v_mul_f32_e32 v127, v18, v127                              // 000000005EF4: 0AFEFF12
	v_mul_f32_dpp v112, v248, v112 quad_perm:[0,0,0,0] row_mask:0xf bank_mask:0xf// 000000005EF8: 0AE0E0FA FF0000F8
	v_mul_f32_dpp v113, v248, v113 quad_perm:[1,1,1,1] row_mask:0xf bank_mask:0xf// 000000005F00: 0AE2E2FA FF0055F8
	v_mul_f32_dpp v114, v248, v114 quad_perm:[2,2,2,2] row_mask:0xf bank_mask:0xf// 000000005F08: 0AE4E4FA FF00AAF8
	v_mul_f32_dpp v115, v248, v115 quad_perm:[3,3,3,3] row_mask:0xf bank_mask:0xf// 000000005F10: 0AE6E6FA FF00FFF8
	v_mul_f32_dpp v116, v249, v116 quad_perm:[0,0,0,0] row_mask:0xf bank_mask:0xf// 000000005F18: 0AE8E8FA FF0000F9
	v_mul_f32_dpp v117, v249, v117 quad_perm:[1,1,1,1] row_mask:0xf bank_mask:0xf// 000000005F20: 0AEAEAFA FF0055F9
	v_mul_f32_dpp v118, v249, v118 quad_perm:[2,2,2,2] row_mask:0xf bank_mask:0xf// 000000005F28: 0AECECFA FF00AAF9
	v_mul_f32_dpp v119, v249, v119 quad_perm:[3,3,3,3] row_mask:0xf bank_mask:0xf// 000000005F30: 0AEEEEFA FF00FFF9
	v_mul_f32_dpp v120, v250, v120 quad_perm:[0,0,0,0] row_mask:0xf bank_mask:0xf// 000000005F38: 0AF0F0FA FF0000FA
	v_mul_f32_dpp v121, v250, v121 quad_perm:[1,1,1,1] row_mask:0xf bank_mask:0xf// 000000005F40: 0AF2F2FA FF0055FA
	v_mul_f32_dpp v122, v250, v122 quad_perm:[2,2,2,2] row_mask:0xf bank_mask:0xf// 000000005F48: 0AF4F4FA FF00AAFA
	v_mul_f32_dpp v123, v250, v123 quad_perm:[3,3,3,3] row_mask:0xf bank_mask:0xf// 000000005F50: 0AF6F6FA FF00FFFA
	v_mul_f32_dpp v124, v251, v124 quad_perm:[0,0,0,0] row_mask:0xf bank_mask:0xf// 000000005F58: 0AF8F8FA FF0000FB
	v_mul_f32_dpp v125, v251, v125 quad_perm:[1,1,1,1] row_mask:0xf bank_mask:0xf// 000000005F60: 0AFAFAFA FF0055FB
	v_mul_f32_dpp v126, v251, v126 quad_perm:[2,2,2,2] row_mask:0xf bank_mask:0xf// 000000005F68: 0AFCFCFA FF00AAFB
	v_mul_f32_dpp v127, v251, v127 quad_perm:[3,3,3,3] row_mask:0xf bank_mask:0xf// 000000005F70: 0AFEFEFA FF00FFFB
	s_and_b32 s60, s72, 0xff                                   // 000000005F78: 863CFF48 000000FF
	v_mov_b32_e32 v65, s60                                     // 000000005F80: 7E82023C
	v_lshrrev_b32_e32 v240, 4, v0                              // 000000005F84: 21E00084
	v_mul_i32_i24_e32 v240, 4, v240                            // 000000005F88: 0DE1E084
	s_mul_i32 s60, s7, 16                                      // 000000005F8C: 923C9007
	v_add_u32_e32 v240, s60, v240                              // 000000005F90: 69E1E03C
	v_add_u32_e32 v241, 1, v240                                // 000000005F94: 69E3E081
	v_add_u32_e32 v242, 2, v240                                // 000000005F98: 69E5E082
	v_add_u32_e32 v243, 3, v240                                // 000000005F9C: 69E7E083
	v_mov_b32_e32 v64, 0xff800000                              // 000000005FA0: 7E8002FF FF800000
	v_cmp_lt_u32_e64 s[40:41], v240, v65                       // 000000005FA8: D0C90028 000283F0
	v_add_u32_e32 v240, 64, v240                               // 000000005FB0: 69E1E0C0
	s_nop 0                                                    // 000000005FB4: BF800000
	v_cndmask_b32_e64 v112, v64, v112, s[40:41]                // 000000005FB8: D1000070 00A2E140
	v_cmp_lt_u32_e64 s[40:41], v241, v65                       // 000000005FC0: D0C90028 000283F1
	v_add_u32_e32 v241, 64, v241                               // 000000005FC8: 69E3E2C0
	s_nop 0                                                    // 000000005FCC: BF800000
	v_cndmask_b32_e64 v113, v64, v113, s[40:41]                // 000000005FD0: D1000071 00A2E340
	v_cmp_lt_u32_e64 s[40:41], v242, v65                       // 000000005FD8: D0C90028 000283F2
	v_add_u32_e32 v242, 64, v242                               // 000000005FE0: 69E5E4C0
	s_nop 0                                                    // 000000005FE4: BF800000
	v_cndmask_b32_e64 v114, v64, v114, s[40:41]                // 000000005FE8: D1000072 00A2E540
	v_cmp_lt_u32_e64 s[40:41], v243, v65                       // 000000005FF0: D0C90028 000283F3
	v_add_u32_e32 v243, 64, v243                               // 000000005FF8: 69E7E6C0
	s_nop 0                                                    // 000000005FFC: BF800000
	v_cndmask_b32_e64 v115, v64, v115, s[40:41]                // 000000006000: D1000073 00A2E740
	v_cmp_lt_u32_e64 s[40:41], v240, v65                       // 000000006008: D0C90028 000283F0
	v_add_u32_e32 v240, 64, v240                               // 000000006010: 69E1E0C0
	s_nop 0                                                    // 000000006014: BF800000
	v_cndmask_b32_e64 v116, v64, v116, s[40:41]                // 000000006018: D1000074 00A2E940
	v_cmp_lt_u32_e64 s[40:41], v241, v65                       // 000000006020: D0C90028 000283F1
	v_add_u32_e32 v241, 64, v241                               // 000000006028: 69E3E2C0
	s_nop 0                                                    // 00000000602C: BF800000
	v_cndmask_b32_e64 v117, v64, v117, s[40:41]                // 000000006030: D1000075 00A2EB40
	v_cmp_lt_u32_e64 s[40:41], v242, v65                       // 000000006038: D0C90028 000283F2
	v_add_u32_e32 v242, 64, v242                               // 000000006040: 69E5E4C0
	s_nop 0                                                    // 000000006044: BF800000
	v_cndmask_b32_e64 v118, v64, v118, s[40:41]                // 000000006048: D1000076 00A2ED40
	v_cmp_lt_u32_e64 s[40:41], v243, v65                       // 000000006050: D0C90028 000283F3
	v_add_u32_e32 v243, 64, v243                               // 000000006058: 69E7E6C0
	s_nop 0                                                    // 00000000605C: BF800000
	v_cndmask_b32_e64 v119, v64, v119, s[40:41]                // 000000006060: D1000077 00A2EF40
	v_cmp_lt_u32_e64 s[40:41], v240, v65                       // 000000006068: D0C90028 000283F0
	v_add_u32_e32 v240, 64, v240                               // 000000006070: 69E1E0C0
	s_nop 0                                                    // 000000006074: BF800000
	v_cndmask_b32_e64 v120, v64, v120, s[40:41]                // 000000006078: D1000078 00A2F140
	v_cmp_lt_u32_e64 s[40:41], v241, v65                       // 000000006080: D0C90028 000283F1
	v_add_u32_e32 v241, 64, v241                               // 000000006088: 69E3E2C0
	s_nop 0                                                    // 00000000608C: BF800000
	v_cndmask_b32_e64 v121, v64, v121, s[40:41]                // 000000006090: D1000079 00A2F340
	v_cmp_lt_u32_e64 s[40:41], v242, v65                       // 000000006098: D0C90028 000283F2
	v_add_u32_e32 v242, 64, v242                               // 0000000060A0: 69E5E4C0
	s_nop 0                                                    // 0000000060A4: BF800000
	v_cndmask_b32_e64 v122, v64, v122, s[40:41]                // 0000000060A8: D100007A 00A2F540
	v_cmp_lt_u32_e64 s[40:41], v243, v65                       // 0000000060B0: D0C90028 000283F3
	v_add_u32_e32 v243, 64, v243                               // 0000000060B8: 69E7E6C0
	s_nop 0                                                    // 0000000060BC: BF800000
	v_cndmask_b32_e64 v123, v64, v123, s[40:41]                // 0000000060C0: D100007B 00A2F740
	v_cmp_lt_u32_e64 s[40:41], v240, v65                       // 0000000060C8: D0C90028 000283F0
	v_add_u32_e32 v240, 64, v240                               // 0000000060D0: 69E1E0C0
	s_nop 0                                                    // 0000000060D4: BF800000
	v_cndmask_b32_e64 v124, v64, v124, s[40:41]                // 0000000060D8: D100007C 00A2F940
	v_cmp_lt_u32_e64 s[40:41], v241, v65                       // 0000000060E0: D0C90028 000283F1
	v_add_u32_e32 v241, 64, v241                               // 0000000060E8: 69E3E2C0
	s_nop 0                                                    // 0000000060EC: BF800000
	v_cndmask_b32_e64 v125, v64, v125, s[40:41]                // 0000000060F0: D100007D 00A2FB40
	v_cmp_lt_u32_e64 s[40:41], v242, v65                       // 0000000060F8: D0C90028 000283F2
	v_add_u32_e32 v242, 64, v242                               // 000000006100: 69E5E4C0
	s_nop 0                                                    // 000000006104: BF800000
	v_cndmask_b32_e64 v126, v64, v126, s[40:41]                // 000000006108: D100007E 00A2FD40
	v_cmp_lt_u32_e64 s[40:41], v243, v65                       // 000000006110: D0C90028 000283F3
	v_add_u32_e32 v243, 64, v243                               // 000000006118: 69E7E6C0
	s_nop 0                                                    // 00000000611C: BF800000
	v_cndmask_b32_e64 v127, v64, v127, s[40:41]                // 000000006120: D100007F 00A2FF40
	v_mov_b32_e32 v48, v112                                    // 000000006128: 7E600370
	v_max3_f32 v48, v112, v113, v48                            // 00000000612C: D1D30030 04C2E370
	v_max3_f32 v48, v114, v115, v48                            // 000000006134: D1D30030 04C2E772
	v_max3_f32 v48, v116, v117, v48                            // 00000000613C: D1D30030 04C2EB74
	v_max3_f32 v48, v118, v119, v48                            // 000000006144: D1D30030 04C2EF76
	v_max3_f32 v48, v120, v121, v48                            // 00000000614C: D1D30030 04C2F378
	v_max3_f32 v48, v122, v123, v48                            // 000000006154: D1D30030 04C2F77A
	v_max3_f32 v48, v124, v125, v48                            // 00000000615C: D1D30030 04C2FB7C
	v_max3_f32 v48, v126, v127, v48                            // 000000006164: D1D30030 04C2FF7E
	ds_write_b32 v8, v48 offset:16896                          // 00000000616C: D81A4200 00003008
	v_mul_u32_u24_dpp v64, v16, v54 row_newbcast:1 row_mask:0xf bank_mask:0xf// 000000006174: 10806CFA FF015110
	v_mul_u32_u24_dpp v65, v16, v54 row_newbcast:5 row_mask:0xf bank_mask:0xf// 00000000617C: 10826CFA FF015510
	v_mul_u32_u24_dpp v66, v16, v54 row_newbcast:9 row_mask:0xf bank_mask:0xf// 000000006184: 10846CFA FF015910
	v_mul_u32_u24_dpp v67, v16, v54 row_newbcast:13 row_mask:0xf bank_mask:0xf// 00000000618C: 10866CFA FF015D10
	v_add_u32_e32 v30, v64, v6                                 // 000000006194: 683C0D40
	v_add_u32_e32 v31, v65, v6                                 // 000000006198: 683E0D41
	v_add_u32_e32 v32, v66, v6                                 // 00000000619C: 68400D42
	v_add_u32_e32 v33, v67, v6                                 // 0000000061A0: 68420D43
	v_mul_f32_e32 v208, v49, v208                              // 0000000061A4: 0BA1A131
	v_mul_f32_e32 v209, v49, v209                              // 0000000061A8: 0BA3A331
	v_mul_f32_e32 v210, v49, v210                              // 0000000061AC: 0BA5A531
	v_mul_f32_e32 v211, v49, v211                              // 0000000061B0: 0BA7A731
	v_mul_f32_e32 v212, v49, v212                              // 0000000061B4: 0BA9A931
	v_mul_f32_e32 v213, v49, v213                              // 0000000061B8: 0BABAB31
	v_mul_f32_e32 v214, v49, v214                              // 0000000061BC: 0BADAD31
	v_mul_f32_e32 v215, v49, v215                              // 0000000061C0: 0BAFAF31
	s_waitcnt lgkmcnt(0)                                       // 0000000061C4: BF8CC07F
	s_barrier                                                  // 0000000061C8: BF8A0000
	ds_read_b32 v64, v7 offset:16896                           // 0000000061CC: D86C4200 40000007
	ds_read_b32 v65, v7 offset:16960                           // 0000000061D4: D86C4240 41000007
	ds_read_b32 v66, v7 offset:17024                           // 0000000061DC: D86C4280 42000007
	ds_read_b32 v67, v7 offset:17088                           // 0000000061E4: D86C42C0 43000007
	ds_read_b32 v68, v7 offset:17152                           // 0000000061EC: D86C4300 44000007
	ds_read_b32 v69, v7 offset:17216                           // 0000000061F4: D86C4340 45000007
	ds_read_b32 v70, v7 offset:17280                           // 0000000061FC: D86C4380 46000007
	ds_read_b32 v71, v7 offset:17344                           // 000000006204: D86C43C0 47000007
	ds_read_b32 v72, v7 offset:17408                           // 00000000620C: D86C4400 48000007
	ds_read_b32 v73, v7 offset:17472                           // 000000006214: D86C4440 49000007
	ds_read_b32 v74, v7 offset:17536                           // 00000000621C: D86C4480 4A000007
	ds_read_b32 v75, v7 offset:17600                           // 000000006224: D86C44C0 4B000007
	ds_read_b32 v76, v7 offset:17664                           // 00000000622C: D86C4500 4C000007
	ds_read_b32 v77, v7 offset:17728                           // 000000006234: D86C4540 4D000007
	ds_read_b32 v78, v7 offset:17792                           // 00000000623C: D86C4580 4E000007
	ds_read_b32 v79, v7 offset:17856                           // 000000006244: D86C45C0 4F000007
	v_cvt_f32_i32_e32 v176, v176                               // 00000000624C: 7F600BB0
	v_cvt_f32_i32_e32 v177, v177                               // 000000006250: 7F620BB1
	v_cvt_f32_i32_e32 v178, v178                               // 000000006254: 7F640BB2
	v_cvt_f32_i32_e32 v179, v179                               // 000000006258: 7F660BB3
	v_cvt_f32_i32_e32 v180, v180                               // 00000000625C: 7F680BB4
	v_cvt_f32_i32_e32 v181, v181                               // 000000006260: 7F6A0BB5
	v_cvt_f32_i32_e32 v182, v182                               // 000000006264: 7F6C0BB6
	v_cvt_f32_i32_e32 v183, v183                               // 000000006268: 7F6E0BB7
	v_mul_f32_e32 v176, v44, v176                              // 00000000626C: 0B61612C
	v_mul_f32_e32 v177, v44, v177                              // 000000006270: 0B63632C
	v_mul_f32_e32 v178, v44, v178                              // 000000006274: 0B65652C
	v_mul_f32_e32 v179, v44, v179                              // 000000006278: 0B67672C
	v_mul_f32_e32 v180, v44, v180                              // 00000000627C: 0B69692C
	v_mul_f32_e32 v181, v44, v181                              // 000000006280: 0B6B6B2C
	v_mul_f32_e32 v182, v44, v182                              // 000000006284: 0B6D6D2C
	v_mul_f32_e32 v183, v44, v183                              // 000000006288: 0B6F6F2C
	s_waitcnt lgkmcnt(0)                                       // 00000000628C: BF8CC07F
	v_max3_f32 v48, v64, v65, v48                              // 000000006290: D1D30030 04C28340
	v_max3_f32 v48, v66, v67, v48                              // 000000006298: D1D30030 04C28742
	v_max3_f32 v48, v68, v69, v48                              // 0000000062A0: D1D30030 04C28B44
	v_max3_f32 v48, v70, v71, v48                              // 0000000062A8: D1D30030 04C28F46
	v_max3_f32 v48, v72, v73, v48                              // 0000000062B0: D1D30030 04C29348
	v_max3_f32 v48, v74, v75, v48                              // 0000000062B8: D1D30030 04C2974A
	v_max3_f32 v48, v76, v77, v48                              // 0000000062C0: D1D30030 04C29B4C
	v_max3_f32 v48, v78, v79, v48                              // 0000000062C8: D1D30030 04C29F4E
	v_mov_b32_e32 v64, 0xff800000                              // 0000000062D0: 7E8002FF FF800000
	v_cmp_eq_u32_e64 s[40:41], v64, v11                        // 0000000062D8: D0CA0028 00021740
	s_nop 1                                                    // 0000000062E0: BF800001
	v_max_f32_e32 v15, v48, v11                                // 0000000062E4: 161E1730
	v_mul_f32_e32 v53, s64, v15                                // 0000000062E8: 0A6A1E40
	v_fma_f32 v112, v112, s64, -v53                            // 0000000062EC: D1CB0070 84D48170
	v_fma_f32 v113, v113, s64, -v53                            // 0000000062F4: D1CB0071 84D48171
	v_fma_f32 v114, v114, s64, -v53                            // 0000000062FC: D1CB0072 84D48172
	v_fma_f32 v115, v115, s64, -v53                            // 000000006304: D1CB0073 84D48173
	v_fma_f32 v116, v116, s64, -v53                            // 00000000630C: D1CB0074 84D48174
	v_fma_f32 v117, v117, s64, -v53                            // 000000006314: D1CB0075 84D48175
	v_fma_f32 v118, v118, s64, -v53                            // 00000000631C: D1CB0076 84D48176
	v_fma_f32 v119, v119, s64, -v53                            // 000000006324: D1CB0077 84D48177
	v_fma_f32 v120, v120, s64, -v53                            // 00000000632C: D1CB0078 84D48178
	v_fma_f32 v121, v121, s64, -v53                            // 000000006334: D1CB0079 84D48179
	v_fma_f32 v122, v122, s64, -v53                            // 00000000633C: D1CB007A 84D4817A
	v_fma_f32 v123, v123, s64, -v53                            // 000000006344: D1CB007B 84D4817B
	v_fma_f32 v124, v124, s64, -v53                            // 00000000634C: D1CB007C 84D4817C
	v_fma_f32 v125, v125, s64, -v53                            // 000000006354: D1CB007D 84D4817D
	v_fma_f32 v126, v126, s64, -v53                            // 00000000635C: D1CB007E 84D4817E
	v_fma_f32 v127, v127, s64, -v53                            // 000000006364: D1CB007F 84D4817F
	v_exp_f32_e32 v112, v112                                   // 00000000636C: 7EE04170
	v_exp_f32_e32 v113, v113                                   // 000000006370: 7EE24171
	v_exp_f32_e32 v114, v114                                   // 000000006374: 7EE44172
	v_exp_f32_e32 v115, v115                                   // 000000006378: 7EE64173
	v_exp_f32_e32 v116, v116                                   // 00000000637C: 7EE84174
	v_exp_f32_e32 v117, v117                                   // 000000006380: 7EEA4175
	v_exp_f32_e32 v118, v118                                   // 000000006384: 7EEC4176
	v_exp_f32_e32 v119, v119                                   // 000000006388: 7EEE4177
	v_exp_f32_e32 v120, v120                                   // 00000000638C: 7EF04178
	v_exp_f32_e32 v121, v121                                   // 000000006390: 7EF24179
	v_exp_f32_e32 v122, v122                                   // 000000006394: 7EF4417A
	v_exp_f32_e32 v123, v123                                   // 000000006398: 7EF6417B
	v_exp_f32_e32 v124, v124                                   // 00000000639C: 7EF8417C
	v_exp_f32_e32 v125, v125                                   // 0000000063A0: 7EFA417D
	v_exp_f32_e32 v126, v126                                   // 0000000063A4: 7EFC417E
	v_exp_f32_e32 v127, v127                                   // 0000000063A8: 7EFE417F
	v_mul_f32_dpp v240, v252, v112 quad_perm:[0,0,0,0] row_mask:0xf bank_mask:0xf// 0000000063AC: 0BE0E0FA FF0000FC
	v_mul_f32_dpp v241, v252, v113 quad_perm:[1,1,1,1] row_mask:0xf bank_mask:0xf// 0000000063B4: 0BE2E2FA FF0055FC
	v_mul_f32_dpp v242, v252, v114 quad_perm:[2,2,2,2] row_mask:0xf bank_mask:0xf// 0000000063BC: 0BE4E4FA FF00AAFC
	v_mul_f32_dpp v243, v252, v115 quad_perm:[3,3,3,3] row_mask:0xf bank_mask:0xf// 0000000063C4: 0BE6E6FA FF00FFFC
	v_mul_f32_dpp v244, v253, v116 quad_perm:[0,0,0,0] row_mask:0xf bank_mask:0xf// 0000000063CC: 0BE8E8FA FF0000FD
	v_mul_f32_dpp v245, v253, v117 quad_perm:[1,1,1,1] row_mask:0xf bank_mask:0xf// 0000000063D4: 0BEAEAFA FF0055FD
	v_mul_f32_dpp v246, v253, v118 quad_perm:[2,2,2,2] row_mask:0xf bank_mask:0xf// 0000000063DC: 0BECECFA FF00AAFD
	v_mul_f32_dpp v247, v253, v119 quad_perm:[3,3,3,3] row_mask:0xf bank_mask:0xf// 0000000063E4: 0BEEEEFA FF00FFFD
	v_mul_f32_dpp v248, v254, v120 quad_perm:[0,0,0,0] row_mask:0xf bank_mask:0xf// 0000000063EC: 0BF0F0FA FF0000FE
	v_mul_f32_dpp v249, v254, v121 quad_perm:[1,1,1,1] row_mask:0xf bank_mask:0xf// 0000000063F4: 0BF2F2FA FF0055FE
	v_mul_f32_dpp v250, v254, v122 quad_perm:[2,2,2,2] row_mask:0xf bank_mask:0xf// 0000000063FC: 0BF4F4FA FF00AAFE
	v_mul_f32_dpp v251, v254, v123 quad_perm:[3,3,3,3] row_mask:0xf bank_mask:0xf// 000000006404: 0BF6F6FA FF00FFFE
	v_mul_f32_dpp v252, v255, v124 quad_perm:[0,0,0,0] row_mask:0xf bank_mask:0xf// 00000000640C: 0BF8F8FA FF0000FF
	v_mul_f32_dpp v253, v255, v125 quad_perm:[1,1,1,1] row_mask:0xf bank_mask:0xf// 000000006414: 0BFAFAFA FF0055FF
	v_mul_f32_dpp v254, v255, v126 quad_perm:[2,2,2,2] row_mask:0xf bank_mask:0xf// 00000000641C: 0BFCFCFA FF00AAFF
	v_mul_f32_dpp v255, v255, v127 quad_perm:[3,3,3,3] row_mask:0xf bank_mask:0xf// 000000006424: 0BFEFEFA FF00FFFF
	v_mov_b32_e32 v48, 0x358637bd                              // 00000000642C: 7E6002FF 358637BD
	v_max3_f32 v48, |v240|, |v241|, v48                        // 000000006434: D1D30330 04C3E3F0
	v_max3_f32 v48, |v242|, |v243|, v48                        // 00000000643C: D1D30330 04C3E7F2
	v_max3_f32 v48, |v244|, |v245|, v48                        // 000000006444: D1D30330 04C3EBF4
	v_max3_f32 v48, |v246|, |v247|, v48                        // 00000000644C: D1D30330 04C3EFF6
	v_max3_f32 v48, |v248|, |v249|, v48                        // 000000006454: D1D30330 04C3F3F8
	v_max3_f32 v48, |v250|, |v251|, v48                        // 00000000645C: D1D30330 04C3F7FA
	v_max3_f32 v48, |v252|, |v253|, v48                        // 000000006464: D1D30330 04C3FBFC
	v_max3_f32 v48, |v254|, |v255|, v48                        // 00000000646C: D1D30330 04C3FFFE
	ds_write_b32 v8, v48 offset:20992                          // 000000006474: D81A5200 00003008
	v_sub_f32_e32 v49, v11, v15                                // 00000000647C: 04621F0B
	v_cndmask_b32_e64 v49, v49, 0, s[40:41]                    // 000000006480: D1000031 00A10131
	v_mov_b32_e32 v11, v15                                     // 000000006488: 7E16030F
	v_mul_f32_e32 v49, s64, v49                                // 00000000648C: 0A626240
	v_exp_f32_e32 v49, v49                                     // 000000006490: 7E624131
	s_waitcnt lgkmcnt(0)                                       // 000000006494: BF8CC07F
	s_barrier                                                  // 000000006498: BF8A0000
	ds_read_b32 v64, v7 offset:20992                           // 00000000649C: D86C5200 40000007
	ds_read_b32 v65, v7 offset:21056                           // 0000000064A4: D86C5240 41000007
	ds_read_b32 v66, v7 offset:21120                           // 0000000064AC: D86C5280 42000007
	ds_read_b32 v67, v7 offset:21184                           // 0000000064B4: D86C52C0 43000007
	ds_read_b32 v68, v7 offset:21248                           // 0000000064BC: D86C5300 44000007
	ds_read_b32 v69, v7 offset:21312                           // 0000000064C4: D86C5340 45000007
	ds_read_b32 v70, v7 offset:21376                           // 0000000064CC: D86C5380 46000007
	ds_read_b32 v71, v7 offset:21440                           // 0000000064D4: D86C53C0 47000007
	ds_read_b32 v72, v7 offset:21504                           // 0000000064DC: D86C5400 48000007
	ds_read_b32 v73, v7 offset:21568                           // 0000000064E4: D86C5440 49000007
	ds_read_b32 v74, v7 offset:21632                           // 0000000064EC: D86C5480 4A000007
	ds_read_b32 v75, v7 offset:21696                           // 0000000064F4: D86C54C0 4B000007
	ds_read_b32 v76, v7 offset:21760                           // 0000000064FC: D86C5500 4C000007
	ds_read_b32 v77, v7 offset:21824                           // 000000006504: D86C5540 4D000007
	ds_read_b32 v78, v7 offset:21888                           // 00000000650C: D86C5580 4E000007
	ds_read_b32 v79, v7 offset:21952                           // 000000006514: D86C55C0 4F000007
	v_mul_f32_e32 v38, v49, v38                                // 00000000651C: 0A4C4D31
	v_mov_b32_e32 v15, v112                                    // 000000006520: 7E1E0370
	v_add_f32_e32 v15, v113, v15                               // 000000006524: 021E1F71
	v_add_f32_e32 v15, v114, v15                               // 000000006528: 021E1F72
	v_add_f32_e32 v15, v115, v15                               // 00000000652C: 021E1F73
	v_add_f32_e32 v15, v116, v15                               // 000000006530: 021E1F74
	v_add_f32_e32 v15, v117, v15                               // 000000006534: 021E1F75
	v_add_f32_e32 v15, v118, v15                               // 000000006538: 021E1F76
	v_add_f32_e32 v15, v119, v15                               // 00000000653C: 021E1F77
	v_add_f32_e32 v15, v120, v15                               // 000000006540: 021E1F78
	v_add_f32_e32 v15, v121, v15                               // 000000006544: 021E1F79
	v_add_f32_e32 v15, v122, v15                               // 000000006548: 021E1F7A
	v_add_f32_e32 v15, v123, v15                               // 00000000654C: 021E1F7B
	v_add_f32_e32 v15, v124, v15                               // 000000006550: 021E1F7C
	v_add_f32_e32 v15, v125, v15                               // 000000006554: 021E1F7D
	v_add_f32_e32 v15, v126, v15                               // 000000006558: 021E1F7E
	v_add_f32_e32 v15, v127, v15                               // 00000000655C: 021E1F7F
	v_add_f32_e32 v38, v15, v38                                // 000000006560: 024C4D0F
	s_waitcnt lgkmcnt(0)                                       // 000000006564: BF8CC07F
	v_max3_f32 v48, |v64|, |v65|, v48                          // 000000006568: D1D30330 04C28340
	v_max3_f32 v48, |v66|, |v67|, v48                          // 000000006570: D1D30330 04C28742
	v_max3_f32 v48, |v68|, |v69|, v48                          // 000000006578: D1D30330 04C28B44
	v_max3_f32 v48, |v70|, |v71|, v48                          // 000000006580: D1D30330 04C28F46
	v_max3_f32 v48, |v72|, |v73|, v48                          // 000000006588: D1D30330 04C29348
	v_max3_f32 v48, |v74|, |v75|, v48                          // 000000006590: D1D30330 04C2974A
	v_max3_f32 v48, |v76|, |v77|, v48                          // 000000006598: D1D30330 04C29B4C
	v_max3_f32 v48, |v78|, |v79|, v48                          // 0000000065A0: D1D30330 04C29F4E
	s_nop 2                                                    // 0000000065A8: BF800002
	v_rcp_f32_e32 v48, v48                                     // 0000000065AC: 7E604530
	s_nop 1                                                    // 0000000065B0: BF800001
	v_mul_f32_e32 v48, 0x42fe0000, v48                         // 0000000065B4: 0A6060FF 42FE0000
	v_mul_f32_e32 v112, v48, v240                              // 0000000065BC: 0AE1E130
	v_mul_f32_e32 v113, v48, v241                              // 0000000065C0: 0AE3E330
	v_mul_f32_e32 v114, v48, v242                              // 0000000065C4: 0AE5E530
	v_mul_f32_e32 v115, v48, v243                              // 0000000065C8: 0AE7E730
	v_mul_f32_e32 v116, v48, v244                              // 0000000065CC: 0AE9E930
	v_mul_f32_e32 v117, v48, v245                              // 0000000065D0: 0AEBEB30
	v_mul_f32_e32 v118, v48, v246                              // 0000000065D4: 0AEDED30
	v_mul_f32_e32 v119, v48, v247                              // 0000000065D8: 0AEFEF30
	v_mul_f32_e32 v120, v48, v248                              // 0000000065DC: 0AF1F130
	v_mul_f32_e32 v121, v48, v249                              // 0000000065E0: 0AF3F330
	v_mul_f32_e32 v122, v48, v250                              // 0000000065E4: 0AF5F530
	v_mul_f32_e32 v123, v48, v251                              // 0000000065E8: 0AF7F730
	v_mul_f32_e32 v124, v48, v252                              // 0000000065EC: 0AF9F930
	v_mul_f32_e32 v125, v48, v253                              // 0000000065F0: 0AFBFB30
	v_mul_f32_e32 v126, v48, v254                              // 0000000065F4: 0AFDFD30
	v_mul_f32_e32 v127, v48, v255                              // 0000000065F8: 0AFFFF30
	v_cvt_i32_f32_e32 v112, v112                               // 0000000065FC: 7EE01170
	v_cvt_i32_f32_e32 v113, v113                               // 000000006600: 7EE21171
	v_cvt_i32_f32_e32 v114, v114                               // 000000006604: 7EE41172
	v_cvt_i32_f32_e32 v115, v115                               // 000000006608: 7EE61173
	v_cvt_i32_f32_e32 v116, v116                               // 00000000660C: 7EE81174
	v_cvt_i32_f32_e32 v117, v117                               // 000000006610: 7EEA1175
	v_cvt_i32_f32_e32 v118, v118                               // 000000006614: 7EEC1176
	v_cvt_i32_f32_e32 v119, v119                               // 000000006618: 7EEE1177
	v_cvt_i32_f32_e32 v120, v120                               // 00000000661C: 7EF01178
	v_cvt_i32_f32_e32 v121, v121                               // 000000006620: 7EF21179
	v_cvt_i32_f32_e32 v122, v122                               // 000000006624: 7EF4117A
	v_cvt_i32_f32_e32 v123, v123                               // 000000006628: 7EF6117B
	v_cvt_i32_f32_e32 v124, v124                               // 00000000662C: 7EF8117C
	v_cvt_i32_f32_e32 v125, v125                               // 000000006630: 7EFA117D
	v_cvt_i32_f32_e32 v126, v126                               // 000000006634: 7EFC117E
	v_cvt_i32_f32_e32 v127, v127                               // 000000006638: 7EFE117F
	v_perm_b32 v112, v113, v112, s53                           // 00000000663C: D1ED0070 00D6E171
	v_perm_b32 v112, v114, v112, s54                           // 000000006644: D1ED0070 00DAE172
	v_perm_b32 v112, v115, v112, s55                           // 00000000664C: D1ED0070 00DEE173
	v_perm_b32 v113, v117, v116, s53                           // 000000006654: D1ED0071 00D6E975
	v_perm_b32 v113, v118, v113, s54                           // 00000000665C: D1ED0071 00DAE376
	v_perm_b32 v113, v119, v113, s55                           // 000000006664: D1ED0071 00DEE377
	v_perm_b32 v114, v121, v120, s53                           // 00000000666C: D1ED0072 00D6F179
	v_perm_b32 v114, v122, v114, s54                           // 000000006674: D1ED0072 00DAE57A
	v_perm_b32 v114, v123, v114, s55                           // 00000000667C: D1ED0072 00DEE57B
	v_perm_b32 v115, v125, v124, s53                           // 000000006684: D1ED0073 00D6F97D
	v_perm_b32 v115, v126, v115, s54                           // 00000000668C: D1ED0073 00DAE77E
	v_perm_b32 v115, v127, v115, s55                           // 000000006694: D1ED0073 00DEE77F
	ds_write_b32 v10, v112 offset:25088                        // 00000000669C: D81A6200 0000700A
	ds_write_b32 v10, v113 offset:26112                        // 0000000066A4: D81A6600 0000710A
	ds_write_b32 v10, v114 offset:27136                        // 0000000066AC: D81A6A00 0000720A
	ds_write_b32 v10, v115 offset:28160                        // 0000000066B4: D81A6E00 0000730A
	v_add_f32_e32 v208, v208, v176                             // 0000000066BC: 03A161D0
	v_add_f32_e32 v209, v209, v177                             // 0000000066C0: 03A363D1
	v_add_f32_e32 v210, v210, v178                             // 0000000066C4: 03A565D2
	v_add_f32_e32 v211, v211, v179                             // 0000000066C8: 03A767D3
	v_add_f32_e32 v212, v212, v180                             // 0000000066CC: 03A969D4
	v_add_f32_e32 v213, v213, v181                             // 0000000066D0: 03AB6BD5
	v_add_f32_e32 v214, v214, v182                             // 0000000066D4: 03AD6DD6
	v_add_f32_e32 v215, v215, v183                             // 0000000066D8: 03AF6FD7
	v_rcp_f32_e32 v44, v48                                     // 0000000066DC: 7E584530
	s_waitcnt lgkmcnt(0)                                       // 0000000066E0: BF8CC07F
	s_barrier                                                  // 0000000066E4: BF8A0000
	ds_read_b64 v[112:113], v9 offset:25088                    // 0000000066E8: D8EC6200 70000009
	ds_read_b64 v[114:115], v9 offset:25216                    // 0000000066F0: D8EC6280 72000009
	ds_read_b64 v[116:117], v9 offset:26112                    // 0000000066F8: D8EC6600 74000009
	ds_read_b64 v[118:119], v9 offset:26240                    // 000000006700: D8EC6680 76000009
	ds_read_b64 v[120:121], v9 offset:27136                    // 000000006708: D8EC6A00 78000009
	ds_read_b64 v[122:123], v9 offset:27264                    // 000000006710: D8EC6A80 7A000009
	ds_read_b64 v[124:125], v9 offset:28160                    // 000000006718: D8EC6E00 7C000009
	ds_read_b64 v[126:127], v9 offset:28288                    // 000000006720: D8EC6E80 7E000009
	s_waitcnt vmcnt(0)                                         // 000000006728: BF8C0F70
	s_barrier                                                  // 00000000672C: BF8A0000
	s_waitcnt lgkmcnt(7)                                       // 000000006730: BF8CC77F
	v_mfma_i32_16x16x32_i8 v[176:179], a[96:97], v[112:113], 0 // 000000006734: D3D700B0 0A02E160
	s_waitcnt lgkmcnt(6)                                       // 00000000673C: BF8CC67F
	v_mfma_i32_16x16x32_i8 v[176:179], a[98:99], v[114:115], v[176:179]// 000000006740: D3D700B0 0EC2E562
	s_waitcnt lgkmcnt(5)                                       // 000000006748: BF8CC57F
	v_mfma_i32_16x16x32_i8 v[176:179], a[100:101], v[116:117], v[176:179]// 00000000674C: D3D700B0 0EC2E964
	s_waitcnt lgkmcnt(4)                                       // 000000006754: BF8CC47F
	v_mfma_i32_16x16x32_i8 v[176:179], a[102:103], v[118:119], v[176:179]// 000000006758: D3D700B0 0EC2ED66
	s_waitcnt lgkmcnt(3)                                       // 000000006760: BF8CC37F
	v_mfma_i32_16x16x32_i8 v[176:179], a[104:105], v[120:121], v[176:179]// 000000006764: D3D700B0 0EC2F168
	s_waitcnt lgkmcnt(2)                                       // 00000000676C: BF8CC27F
	v_mfma_i32_16x16x32_i8 v[176:179], a[106:107], v[122:123], v[176:179]// 000000006770: D3D700B0 0EC2F56A
	s_waitcnt lgkmcnt(1)                                       // 000000006778: BF8CC17F
	v_mfma_i32_16x16x32_i8 v[176:179], a[108:109], v[124:125], v[176:179]// 00000000677C: D3D700B0 0EC2F96C
	s_waitcnt lgkmcnt(0)                                       // 000000006784: BF8CC07F
	v_mfma_i32_16x16x32_i8 v[176:179], a[110:111], v[126:127], v[176:179]// 000000006788: D3D700B0 0EC2FD6E
	v_mfma_i32_16x16x32_i8 v[180:183], a[112:113], v[112:113], 0// 000000006790: D3D700B4 0A02E170
	v_mfma_i32_16x16x32_i8 v[180:183], a[114:115], v[114:115], v[180:183]// 000000006798: D3D700B4 0ED2E572
	v_mfma_i32_16x16x32_i8 v[180:183], a[116:117], v[116:117], v[180:183]// 0000000067A0: D3D700B4 0ED2E974
	v_mfma_i32_16x16x32_i8 v[180:183], a[118:119], v[118:119], v[180:183]// 0000000067A8: D3D700B4 0ED2ED76
	v_mfma_i32_16x16x32_i8 v[180:183], a[120:121], v[120:121], v[180:183]// 0000000067B0: D3D700B4 0ED2F178
	v_mfma_i32_16x16x32_i8 v[180:183], a[122:123], v[122:123], v[180:183]// 0000000067B8: D3D700B4 0ED2F57A
	v_mfma_i32_16x16x32_i8 v[180:183], a[124:125], v[124:125], v[180:183]// 0000000067C0: D3D700B4 0ED2F97C
	v_mfma_i32_16x16x32_i8 v[180:183], a[126:127], v[126:127], v[180:183]// 0000000067C8: D3D700B4 0ED2FD7E
	s_nop 4                                                    // 0000000067D0: BF800004
	s_branch label_1176                                        // 0000000067D4: BF820000

00000000000067d8 <label_1176>:
	v_mul_f32_e32 v208, v49, v208                              // 0000000067D8: 0BA1A131
	v_mul_f32_e32 v209, v49, v209                              // 0000000067DC: 0BA3A331
	v_mul_f32_e32 v210, v49, v210                              // 0000000067E0: 0BA5A531
	v_mul_f32_e32 v211, v49, v211                              // 0000000067E4: 0BA7A731
	v_mul_f32_e32 v212, v49, v212                              // 0000000067E8: 0BA9A931
	v_mul_f32_e32 v213, v49, v213                              // 0000000067EC: 0BABAB31
	v_mul_f32_e32 v214, v49, v214                              // 0000000067F0: 0BADAD31
	v_mul_f32_e32 v215, v49, v215                              // 0000000067F4: 0BAFAF31
	v_cvt_f32_i32_e32 v176, v176                               // 0000000067F8: 7F600BB0
	v_cvt_f32_i32_e32 v177, v177                               // 0000000067FC: 7F620BB1
	v_cvt_f32_i32_e32 v178, v178                               // 000000006800: 7F640BB2
	v_cvt_f32_i32_e32 v179, v179                               // 000000006804: 7F660BB3
	v_cvt_f32_i32_e32 v180, v180                               // 000000006808: 7F680BB4
	v_cvt_f32_i32_e32 v181, v181                               // 00000000680C: 7F6A0BB5
	v_cvt_f32_i32_e32 v182, v182                               // 000000006810: 7F6C0BB6
	v_cvt_f32_i32_e32 v183, v183                               // 000000006814: 7F6E0BB7
	v_mul_f32_e32 v176, v44, v176                              // 000000006818: 0B61612C
	v_mul_f32_e32 v177, v44, v177                              // 00000000681C: 0B63632C
	v_mul_f32_e32 v178, v44, v178                              // 000000006820: 0B65652C
	v_mul_f32_e32 v179, v44, v179                              // 000000006824: 0B67672C
	v_mul_f32_e32 v180, v44, v180                              // 000000006828: 0B69692C
	v_mul_f32_e32 v181, v44, v181                              // 00000000682C: 0B6B6B2C
	v_mul_f32_e32 v182, v44, v182                              // 000000006830: 0B6D6D2C
	v_mul_f32_e32 v183, v44, v183                              // 000000006834: 0B6F6F2C
	v_add_f32_e32 v208, v208, v176                             // 000000006838: 03A161D0
	v_add_f32_e32 v209, v209, v177                             // 00000000683C: 03A363D1
	v_add_f32_e32 v210, v210, v178                             // 000000006840: 03A565D2
	v_add_f32_e32 v211, v211, v179                             // 000000006844: 03A767D3
	v_add_f32_e32 v212, v212, v180                             // 000000006848: 03A969D4
	v_add_f32_e32 v213, v213, v181                             // 00000000684C: 03AB6BD5
	v_add_f32_e32 v214, v214, v182                             // 000000006850: 03AD6DD6
	v_add_f32_e32 v215, v215, v183                             // 000000006854: 03AF6FD7
	ds_write_b32 v8, v38 offset:16896                          // 000000006858: D81A4200 00002608
	s_waitcnt lgkmcnt(0)                                       // 000000006860: BF8CC07F
	s_barrier                                                  // 000000006864: BF8A0000
	ds_read_b32 v64, v7 offset:16896                           // 000000006868: D86C4200 40000007
	ds_read_b32 v65, v7 offset:16960                           // 000000006870: D86C4240 41000007
	ds_read_b32 v66, v7 offset:17024                           // 000000006878: D86C4280 42000007
	ds_read_b32 v67, v7 offset:17088                           // 000000006880: D86C42C0 43000007
	ds_read_b32 v68, v7 offset:17152                           // 000000006888: D86C4300 44000007
	ds_read_b32 v69, v7 offset:17216                           // 000000006890: D86C4340 45000007
	ds_read_b32 v70, v7 offset:17280                           // 000000006898: D86C4380 46000007
	ds_read_b32 v71, v7 offset:17344                           // 0000000068A0: D86C43C0 47000007
	ds_read_b32 v72, v7 offset:17408                           // 0000000068A8: D86C4400 48000007
	ds_read_b32 v73, v7 offset:17472                           // 0000000068B0: D86C4440 49000007
	ds_read_b32 v74, v7 offset:17536                           // 0000000068B8: D86C4480 4A000007
	ds_read_b32 v75, v7 offset:17600                           // 0000000068C0: D86C44C0 4B000007
	ds_read_b32 v76, v7 offset:17664                           // 0000000068C8: D86C4500 4C000007
	ds_read_b32 v77, v7 offset:17728                           // 0000000068D0: D86C4540 4D000007
	ds_read_b32 v78, v7 offset:17792                           // 0000000068D8: D86C4580 4E000007
	ds_read_b32 v79, v7 offset:17856                           // 0000000068E0: D86C45C0 4F000007
	s_waitcnt lgkmcnt(0)                                       // 0000000068E8: BF8CC07F
	v_mov_b32_e32 v38, 0                                       // 0000000068EC: 7E4C0280
	v_add_f32_e32 v38, v64, v38                                // 0000000068F0: 024C4D40
	v_add_f32_e32 v38, v65, v38                                // 0000000068F4: 024C4D41
	v_add_f32_e32 v38, v66, v38                                // 0000000068F8: 024C4D42
	v_add_f32_e32 v38, v67, v38                                // 0000000068FC: 024C4D43
	v_add_f32_e32 v38, v68, v38                                // 000000006900: 024C4D44
	v_add_f32_e32 v38, v69, v38                                // 000000006904: 024C4D45
	v_add_f32_e32 v38, v70, v38                                // 000000006908: 024C4D46
	v_add_f32_e32 v38, v71, v38                                // 00000000690C: 024C4D47
	v_add_f32_e32 v38, v72, v38                                // 000000006910: 024C4D48
	v_add_f32_e32 v38, v73, v38                                // 000000006914: 024C4D49
	v_add_f32_e32 v38, v74, v38                                // 000000006918: 024C4D4A
	v_add_f32_e32 v38, v75, v38                                // 00000000691C: 024C4D4B
	v_add_f32_e32 v38, v76, v38                                // 000000006920: 024C4D4C
	v_add_f32_e32 v38, v77, v38                                // 000000006924: 024C4D4D
	v_add_f32_e32 v38, v78, v38                                // 000000006928: 024C4D4E
	v_add_f32_e32 v38, v79, v38                                // 00000000692C: 024C4D4F
	s_nop 1                                                    // 000000006930: BF800001
	v_rcp_f32_e32 v38, v38                                     // 000000006934: 7E4C4526
	s_nop 1                                                    // 000000006938: BF800001
	v_mul_f32_e32 v208, v38, v208                              // 00000000693C: 0BA1A126
	v_mul_f32_e32 v209, v38, v209                              // 000000006940: 0BA3A326
	v_mul_f32_e32 v210, v38, v210                              // 000000006944: 0BA5A526
	v_mul_f32_e32 v211, v38, v211                              // 000000006948: 0BA7A726
	v_mul_f32_e32 v212, v38, v212                              // 00000000694C: 0BA9A926
	v_mul_f32_e32 v213, v38, v213                              // 000000006950: 0BABAB26
	v_mul_f32_e32 v214, v38, v214                              // 000000006954: 0BADAD26
	v_mul_f32_e32 v215, v38, v215                              // 000000006958: 0BAFAF26
	v_mov_b32_e32 v19, 0xffff0000                              // 00000000695C: 7E2602FF FFFF0000
	v_mov_b32_e32 v20, 0x7fff0000                              // 000000006964: 7E2802FF 7FFF0000
	v_mov_b32_e32 v21, 0x7fff                                  // 00000000696C: 7E2A02FF 00007FFF
	v_cvt_pkrtz_f16_f32 v64, v208, v209                        // 000000006974: D2960040 0003A3D0
	v_mov_b32_e32 v208, v64                                    // 00000000697C: 7FA00340
	v_cvt_pkrtz_f16_f32 v64, v210, v211                        // 000000006980: D2960040 0003A7D2
	v_mov_b32_e32 v209, v64                                    // 000000006988: 7FA20340
	v_cvt_pkrtz_f16_f32 v64, v212, v213                        // 00000000698C: D2960040 0003ABD4
	v_mov_b32_e32 v210, v64                                    // 000000006994: 7FA40340
	v_cvt_pkrtz_f16_f32 v64, v214, v215                        // 000000006998: D2960040 0003AFD6
	v_mov_b32_e32 v211, v64                                    // 0000000069A0: 7FA60340
	s_nop 1                                                    // 0000000069A4: BF800001
	v_lshrrev_b32_e32 v64, 4, v0                               // 0000000069A8: 20800084
	v_mul_i32_i24_e32 v68, 34, v64                             // 0000000069AC: 0C8880A2
	v_and_b32_e32 v64, 15, v0                                  // 0000000069B0: 2680008F
	v_mul_i32_i24_e32 v65, 2, v64                              // 0000000069B4: 0C828082
	v_add_u32_e32 v68, v65, v68                                // 0000000069B8: 68888941
	s_mul_i32 s60, s7, 0x88                                    // 0000000069BC: 923CFF07 00000088
	v_add_u32_e32 v68, s60, v68                                // 0000000069C4: 6888883C
	v_lshlrev_b32_e32 v68, 2, v68                              // 0000000069C8: 24888882
	ds_write_b64 v68, v[208:209] offset:41472                  // 0000000069CC: D89AA200 0000D044
	ds_write_b64 v68, v[210:211] offset:43648                  // 0000000069D4: D89AAA80 0000D244
	v_lshrrev_b32_e32 v64, 1, v0                               // 0000000069DC: 20800081
	v_mul_i32_i24_e32 v68, 34, v64                             // 0000000069E0: 0C8880A2
	v_and_b32_e32 v65, 1, v0                                   // 0000000069E4: 26820081
	v_add_u32_e32 v68, v65, v68                                // 0000000069E8: 68888941
	s_mul_i32 s60, s7, 2                                       // 0000000069EC: 923C8207
	v_add_u32_e32 v68, s60, v68                                // 0000000069F0: 6888883C
	v_lshlrev_b32_e32 v68, 2, v68                              // 0000000069F4: 24888882
	s_waitcnt lgkmcnt(0)                                       // 0000000069F8: BF8CC07F
	s_barrier                                                  // 0000000069FC: BF8A0000
	ds_read_b32 v208, v68 offset:41472                         // 000000006A00: D86CA200 D0000044
	ds_read_b32 v209, v68 offset:41504                         // 000000006A08: D86CA220 D1000044
	ds_read_b32 v210, v68 offset:41536                         // 000000006A10: D86CA240 D2000044
	ds_read_b32 v211, v68 offset:41568                         // 000000006A18: D86CA260 D3000044
	s_mul_i32 s60, s7, 0x100                                   // 000000006A20: 923CFF07 00000100
	v_lshlrev_b32_e32 v64, 2, v0                               // 000000006A28: 24800082
	v_add_u32_e64 v64, v64, s60                                // 000000006A2C: D1340040 00007940
	s_waitcnt lgkmcnt(0)                                       // 000000006A34: BF8CC07F
	buffer_store_dword v208, v64, s[8:11], 0 offen             // 000000006A38: E0701000 8002D040
	buffer_store_dword v209, v64, s[8:11], 0 offen offset:1024 // 000000006A40: E0701400 8002D140
	buffer_store_dword v210, v64, s[8:11], 0 offen offset:2048 // 000000006A48: E0701800 8002D240
	buffer_store_dword v211, v64, s[8:11], 0 offen offset:3072 // 000000006A50: E0701C00 8002D340
	s_add_u32 s8, s75, s8                                      // 000000006A58: 8008084B
	s_addc_u32 s9, 0, s9                                       // 000000006A5C: 82090980
	s_branch label_3293                                        // 000000006A60: BF82207A

0000000000006a64 <label_1219>:
	s_mul_i32 s60, s3, s65                                     // 000000006A64: 923C4103
	s_mul_i32 s60, s60, 4                                      // 000000006A68: 923C843C
	s_add_u32 s24, s60, s24                                    // 000000006A6C: 8018183C
	s_addc_u32 s25, 0, s25                                     // 000000006A70: 82191980
	s_mov_b32 s56, 64                                          // 000000006A74: BEB800C0
	s_add_u32 s73, s72, 15                                     // 000000006A78: 80498F48
	s_lshr_b32 s73, s73, 4                                     // 000000006A7C: 8F498449
	s_mul_i32 s60, s73, 4                                      // 000000006A80: 923C8449
	s_mov_b32 s26, s60                                         // 000000006A84: BE9A003C
	v_and_b32_e32 v65, 3, v0                                   // 000000006A88: 26820083
	v_cmp_eq_u32_e64 s[60:61], 0, v65                          // 000000006A8C: D0CA003C 00028280
	v_and_b32_e32 v64, 12, v0                                  // 000000006A94: 2680008C
	v_add_u32_e32 v1, s7, v64                                  // 000000006A98: 68028007
	v_cndmask_b32_e64 v1, 0, v1, s[60:61]                      // 000000006A9C: D1000001 00F20280
	v_and_b32_e32 v65, 3, v0                                   // 000000006AA4: 26820083
	v_cmp_eq_u32_e64 s[60:61], 1, v65                          // 000000006AA8: D0CA003C 00028281
	v_lshrrev_b32_e32 v64, 4, v0                               // 000000006AB0: 20800084
	v_and_b32_e32 v65, 12, v0                                  // 000000006AB4: 2682008C
	v_add_u32_e32 v64, v65, v64                                // 000000006AB8: 68808141
	v_cndmask_b32_e64 v64, 0, v64, s[60:61]                    // 000000006ABC: D1000040 00F28080
	v_add_u32_e32 v1, v1, v64                                  // 000000006AC4: 68028101
	v_lshlrev_b32_e32 v1, 2, v1                                // 000000006AC8: 24020282
	buffer_load_dword v16, v1, s[24:27], 0 offen               // 000000006ACC: E0501000 80061001
	v_add_u32_e32 v1, s56, v1                                  // 000000006AD4: 68020238
	buffer_load_dword v17, v1, s[24:27], 0 offen               // 000000006AD8: E0501000 80061101
	s_cmp_le_u32 s73, 32                                       // 000000006AE0: BF0BA049
	s_cselect_b32 s56, 0, s56                                  // 000000006AE4: 85383880
	s_mul_i32 s60, s2, s67                                     // 000000006AE8: 923C4302
	s_mul_i32 s61, s84, s74                                    // 000000006AEC: 923D4A54
	s_add_u32 s60, s60, s61                                    // 000000006AF0: 803C3D3C
	s_add_u32 s12, s60, s12                                    // 000000006AF4: 800C0C3C
	s_addc_u32 s13, 0, s13                                     // 000000006AF8: 820D0D80
	s_mul_i32 s60, s7, 0x108                                   // 000000006AFC: 923CFF07 00000108
	s_add_u32 m0, 0, s60                                       // 000000006B04: 807C3C80
	s_mul_i32 s60, s7, 0x100                                   // 000000006B08: 923CFF07 00000100
	v_lshlrev_b32_e32 v64, 2, v0                               // 000000006B10: 24800082
	v_add_u32_e64 v64, v64, s60                                // 000000006B14: D1340040 00007940
	v_add_u32_e32 v65, 0x400, v64                              // 000000006B1C: 688280FF 00000400
	v_add_u32_e32 v66, 0x800, v64                              // 000000006B24: 688480FF 00000800
	v_add_u32_e32 v67, 0xc00, v64                              // 000000006B2C: 688680FF 00000C00
	buffer_load_dword v64, s[12:15], 0 offen lds               // 000000006B34: E0511000 80030040
	s_mul_i32 s60, 4, 0x108                                    // 000000006B3C: 923CFF84 00000108
	s_add_u32 m0, m0, s60                                      // 000000006B44: 807C3C7C
	buffer_load_dword v65, s[12:15], 0 offen lds               // 000000006B48: E0511000 80030041
	s_mul_i32 s60, 4, 0x108                                    // 000000006B50: 923CFF84 00000108
	s_add_u32 m0, m0, s60                                      // 000000006B58: 807C3C7C
	buffer_load_dword v66, s[12:15], 0 offen lds               // 000000006B5C: E0511000 80030042
	s_mul_i32 s60, 4, 0x108                                    // 000000006B64: 923CFF84 00000108
	s_add_u32 m0, m0, s60                                      // 000000006B6C: 807C3C7C
	buffer_load_dword v67, s[12:15], 0 offen lds               // 000000006B70: E0511000 80030043
	s_mul_i32 s60, 4, 0x108                                    // 000000006B78: 923CFF84 00000108
	s_add_u32 m0, m0, s60                                      // 000000006B80: 807C3C7C
	s_add_u32 s12, s74, s12                                    // 000000006B84: 800C0C4A
	s_addc_u32 s13, 0, s13                                     // 000000006B88: 820D0D80
	buffer_load_dword v64, s[12:15], 0 offen lds               // 000000006B8C: E0511000 80030040
	s_mul_i32 s60, 4, 0x108                                    // 000000006B94: 923CFF84 00000108
	s_add_u32 m0, m0, s60                                      // 000000006B9C: 807C3C7C
	buffer_load_dword v65, s[12:15], 0 offen lds               // 000000006BA0: E0511000 80030041
	s_mul_i32 s60, 4, 0x108                                    // 000000006BA8: 923CFF84 00000108
	s_add_u32 m0, m0, s60                                      // 000000006BB0: 807C3C7C
	buffer_load_dword v66, s[12:15], 0 offen lds               // 000000006BB4: E0511000 80030042
	s_mul_i32 s60, 4, 0x108                                    // 000000006BBC: 923CFF84 00000108
	s_add_u32 m0, m0, s60                                      // 000000006BC4: 807C3C7C
	buffer_load_dword v67, s[12:15], 0 offen lds               // 000000006BC8: E0511000 80030043
	s_mul_i32 s60, 4, 0x108                                    // 000000006BD0: 923CFF84 00000108
	s_add_u32 m0, m0, s60                                      // 000000006BD8: 807C3C7C
	s_add_u32 s12, s74, s12                                    // 000000006BDC: 800C0C4A
	s_addc_u32 s13, 0, s13                                     // 000000006BE0: 820D0D80
	v_lshrrev_b32_e32 v64, 4, v0                               // 000000006BE4: 20800084
	v_lshlrev_b32_e32 v64, 2, v64                              // 000000006BE8: 24808082
	v_and_b32_e32 v65, 3, v0                                   // 000000006BEC: 26820083
	v_add_u32_e32 v64, v65, v64                                // 000000006BF0: 68808141
	v_lshlrev_b32_e32 v59, 2, v64                              // 000000006BF4: 24768082
	v_mov_b32_e32 v60, v59                                     // 000000006BF8: 7E78033B
	s_mul_i32 s60, s2, 64                                      // 000000006BFC: 923CC002
	s_add_u32 s32, s60, s32                                    // 000000006C00: 8020203C
	s_addc_u32 s33, 0, s33                                     // 000000006C04: 82212180
	s_add_u32 s36, s60, s36                                    // 000000006C08: 8024243C
	s_addc_u32 s37, 0, s37                                     // 000000006C0C: 82252580
	s_mul_i32 s60, s2, s76                                     // 000000006C10: 923C4C02
	s_mul_i32 s61, s84, s75                                    // 000000006C14: 923D4B54
	s_add_u32 s60, s60, s61                                    // 000000006C18: 803C3D3C
	s_add_u32 s8, s60, s8                                      // 000000006C1C: 8008083C
	s_addc_u32 s9, 0, s9                                       // 000000006C20: 82090980
	s_mov_b32 s70, 0                                           // 000000006C24: BEC60080
	s_and_b32 s71, s72, 0xffffff00                             // 000000006C28: 8647FF48 FFFFFF00
	s_mov_b32 s42, 0xff00ff00                                  // 000000006C30: BEAA00FF FF00FF00
	s_mov_b32 s43, 0xff00ff00                                  // 000000006C38: BEAB00FF FF00FF00
	s_mov_b32 s44, 0xf0f0f0f0                                  // 000000006C40: BEAC00FF F0F0F0F0
	s_mov_b32 s45, 0xf0f0f0f0                                  // 000000006C48: BEAD00FF F0F0F0F0
	s_mov_b32 s78, 0xff00ff                                    // 000000006C50: BECE00FF 00FF00FF
	s_mov_b32 s79, 0xff00ff                                    // 000000006C58: BECF00FF 00FF00FF
	v_mul_i32_i24_e64 v63, 64, s66                             // 000000006C60: D106003F 000084C0
	v_mov_b32_e32 v54, s68                                     // 000000006C68: 7E6C0244
	s_mov_b32 s52, 0x7060302                                   // 000000006C6C: BEB400FF 07060302
	s_mov_b32 s53, 0x400                                       // 000000006C74: BEB500FF 00000400
	s_mov_b32 s54, 0x40100                                     // 000000006C7C: BEB600FF 00040100
	s_mov_b32 s55, 0x4020100                                   // 000000006C84: BEB700FF 04020100
	s_mov_b32 s6, 0x3fb8aa3b                                   // 000000006C8C: BE8600FF 3FB8AA3B
	v_mov_b32_e32 v11, 0xff800000                              // 000000006C94: 7E1602FF FF800000
	v_mov_b32_e32 v12, 0xff800000                              // 000000006C9C: 7E1802FF FF800000
	v_mov_b32_e32 v49, 0                                       // 000000006CA4: 7E620280
	v_mov_b32_e32 v50, 0                                       // 000000006CA8: 7E640280
	v_mov_b32_e32 v38, 0                                       // 000000006CAC: 7E4C0280
	v_mov_b32_e32 v39, 0                                       // 000000006CB0: 7E4E0280
	v_mov_b32_e32 v44, 0                                       // 000000006CB4: 7E580280
	v_mov_b32_e32 v45, 0                                       // 000000006CB8: 7E5A0280
	v_add_u32_e32 v1, s56, v1                                  // 000000006CBC: 68020238
	v_and_b32_e32 v7, 15, v0                                   // 000000006CC0: 260E008F
	v_lshlrev_b32_e32 v7, 2, v7                                // 000000006CC4: 240E0E82
	v_lshlrev_b32_e32 v8, 2, v0                                // 000000006CC8: 24100082
	s_mul_i32 s60, 0x100, s7                                   // 000000006CCC: 923C07FF 00000100
	v_add_u32_e32 v8, s60, v8                                  // 000000006CD4: 6810103C
	v_lshrrev_b32_e32 v64, 4, v0                               // 000000006CD8: 20800084
	v_lshlrev_b32_e32 v65, 6, v64                              // 000000006CDC: 24828086
	v_and_b32_e32 v64, 15, v0                                  // 000000006CE0: 2680008F
	v_lshlrev_b32_e32 v64, 1, v64                              // 000000006CE4: 24808081
	v_add_u32_e32 v65, v64, v65                                // 000000006CE8: 68828340
	v_lshlrev_b32_e32 v9, 2, v65                               // 000000006CEC: 24128282
	v_lshrrev_b32_e32 v64, 5, v0                               // 000000006CF0: 20800085
	v_lshlrev_b32_e32 v65, 5, v64                              // 000000006CF4: 24828085
	v_and_b32_e32 v64, 31, v0                                  // 000000006CF8: 2680009F
	v_lshrrev_b32_e32 v66, 4, v64                              // 000000006CFC: 20848084
	v_add_u32_e32 v65, v66, v65                                // 000000006D00: 68828342
	v_and_b32_e32 v64, 15, v0                                  // 000000006D04: 2680008F
	v_lshlrev_b32_e32 v64, 1, v64                              // 000000006D08: 24808081
	v_add_u32_e32 v65, v64, v65                                // 000000006D0C: 68828340
	v_lshlrev_b32_e32 v64, 2, v65                              // 000000006D10: 24808282
	s_mul_i32 s60, 0x100, s7                                   // 000000006D14: 923C07FF 00000100
	v_add_u32_e64 v10, v64, s60                                // 000000006D1C: D134000A 00007940
	v_lshlrev_b32_e32 v5, 4, v0                                // 000000006D24: 240A0084
	s_mul_i32 s60, s2, s69                                     // 000000006D28: 923C4502
	s_add_u32 s16, s60, s16                                    // 000000006D2C: 8010103C
	s_addc_u32 s17, 0, s17                                     // 000000006D30: 82111180
	v_and_b32_e32 v64, 15, v0                                  // 000000006D34: 2680008F
	v_lshlrev_b32_e32 v6, 4, v64                               // 000000006D38: 240C8084
	s_mul_i32 s61, s2, s69                                     // 000000006D3C: 923D4502
	s_mul_i32 s60, s7, 0x100                                   // 000000006D40: 923CFF07 00000100
	s_add_u32 s60, s60, s61                                    // 000000006D48: 803C3D3C
	s_add_u32 s20, s60, s20                                    // 000000006D4C: 8014143C
	s_addc_u32 s21, 0, s21                                     // 000000006D50: 82151580
	s_waitcnt vmcnt(4)                                         // 000000006D54: BF8C0F74
	v_mul_u32_u24_dpp v64, v16, v54 row_newbcast:0 row_mask:0xf bank_mask:0xf// 000000006D58: 10806CFA FF015010
	v_mul_u32_u24_dpp v65, v16, v54 row_newbcast:4 row_mask:0xf bank_mask:0xf// 000000006D60: 10826CFA FF015410
	v_mul_u32_u24_dpp v66, v16, v54 row_newbcast:8 row_mask:0xf bank_mask:0xf// 000000006D68: 10846CFA FF015810
	v_mul_u32_u24_dpp v67, v16, v54 row_newbcast:12 row_mask:0xf bank_mask:0xf// 000000006D70: 10866CFA FF015C10
	v_add_u32_e32 v22, v64, v5                                 // 000000006D78: 682C0B40
	v_add_u32_e32 v23, v65, v5                                 // 000000006D7C: 682E0B41
	v_add_u32_e32 v24, v66, v5                                 // 000000006D80: 68300B42
	v_add_u32_e32 v25, v67, v5                                 // 000000006D84: 68320B43
	v_mul_u32_u24_dpp v64, v16, v54 row_newbcast:1 row_mask:0xf bank_mask:0xf// 000000006D88: 10806CFA FF015110
	v_mul_u32_u24_dpp v65, v16, v54 row_newbcast:5 row_mask:0xf bank_mask:0xf// 000000006D90: 10826CFA FF015510
	v_mul_u32_u24_dpp v66, v16, v54 row_newbcast:9 row_mask:0xf bank_mask:0xf// 000000006D98: 10846CFA FF015910
	v_mul_u32_u24_dpp v67, v16, v54 row_newbcast:13 row_mask:0xf bank_mask:0xf// 000000006DA0: 10866CFA FF015D10
	v_add_u32_e32 v30, v64, v6                                 // 000000006DA8: 683C0D40
	v_add_u32_e32 v31, v65, v6                                 // 000000006DAC: 683E0D41
	v_add_u32_e32 v32, v66, v6                                 // 000000006DB0: 68400D42
	v_add_u32_e32 v33, v67, v6                                 // 000000006DB4: 68420D43
	v_mul_u32_u24_dpp v64, v16, v63 quad_perm:[0,0,0,0] row_mask:0xf bank_mask:0xf// 000000006DB8: 10807EFA FF000010
	v_add_u32_e32 v2, v64, v59                                 // 000000006DC0: 68047740
	v_mul_u32_u24_dpp v64, v16, v63 quad_perm:[0,0,0,0] row_mask:0xf bank_mask:0xf// 000000006DC4: 10807EFA FF000010
	v_add_u32_e32 v55, v64, v60                                // 000000006DCC: 686E7940
	buffer_load_dword v42, v2, s[32:35], 0 offen               // 000000006DD0: E0501000 80082A02
	buffer_load_dwordx4 a[0:3], v22, s[16:19], 0 offen         // 000000006DD8: E05C1000 80840016
	buffer_load_dwordx4 a[4:7], v22, s[16:19], 0 offen offset:1024// 000000006DE0: E05C1400 80840416
	buffer_load_dwordx4 a[8:11], v23, s[16:19], 0 offen        // 000000006DE8: E05C1000 80840817
	buffer_load_dwordx4 a[12:15], v23, s[16:19], 0 offen offset:1024// 000000006DF0: E05C1400 80840C17
	buffer_load_dwordx4 a[16:19], v24, s[16:19], 0 offen       // 000000006DF8: E05C1000 80841018
	buffer_load_dwordx4 a[20:23], v24, s[16:19], 0 offen offset:1024// 000000006E00: E05C1400 80841418
	buffer_load_dwordx4 a[24:27], v25, s[16:19], 0 offen       // 000000006E08: E05C1000 80841819
	buffer_load_dwordx4 a[28:31], v25, s[16:19], 0 offen offset:1024// 000000006E10: E05C1400 80841C19
	buffer_load_dword v57, v55, s[36:39], 0 offen              // 000000006E18: E0501000 80093937
	buffer_load_dwordx4 a[64:67], v30, s[20:23], 0 offen       // 000000006E20: E05C1000 8085401E
	buffer_load_dwordx4 a[68:71], v31, s[20:23], 0 offen       // 000000006E28: E05C1000 8085441F
	buffer_load_dwordx4 a[72:75], v32, s[20:23], 0 offen       // 000000006E30: E05C1000 80854820
	buffer_load_dwordx4 a[76:79], v33, s[20:23], 0 offen       // 000000006E38: E05C1000 80854C21
	buffer_load_dwordx4 a[80:83], v30, s[20:23], 0 offen offset:1024// 000000006E40: E05C1400 8085501E
	buffer_load_dwordx4 a[84:87], v31, s[20:23], 0 offen offset:1024// 000000006E48: E05C1400 8085541F
	buffer_load_dwordx4 a[88:91], v32, s[20:23], 0 offen offset:1024// 000000006E50: E05C1400 80855820
	buffer_load_dwordx4 a[92:95], v33, s[20:23], 0 offen offset:1024// 000000006E58: E05C1400 80855C21
	v_lshrrev_b32_e32 v64, 4, v0                               // 000000006E60: 20800084
	v_lshlrev_b32_e32 v65, 1, v64                              // 000000006E64: 24828081
	v_and_b32_e32 v64, 15, v0                                  // 000000006E68: 2680008F
	v_mul_i32_i24_e32 v64, 0x42, v64                           // 000000006E6C: 0C8080FF 00000042
	v_add_u32_e32 v65, v64, v65                                // 000000006E74: 68828340
	v_lshlrev_b32_e32 v4, 2, v65                               // 000000006E78: 24088282
	s_mul_i32 s60, s7, 32                                      // 000000006E7C: 923CA007
	v_add_u32_e32 v4, s60, v4                                  // 000000006E80: 6808083C
	s_waitcnt vmcnt(16) lgkmcnt(0)                             // 000000006E84: BF8C4070
	s_barrier                                                  // 000000006E88: BF8A0000
	ds_read_b64 v[80:81], v4                                   // 000000006E8C: D8EC0000 50000004
	ds_read_b64 v[84:85], v4 offset:128                        // 000000006E94: D8EC0080 54000004
	s_waitcnt lgkmcnt(0)                                       // 000000006E9C: BF8CC07F
	v_and_b32_e32 v64, 0xffff, v80                             // 000000006EA0: 2680A0FF 0000FFFF
	v_lshrrev_b32_e32 v65, 16, v80                             // 000000006EA8: 2082A090
	v_and_b32_e32 v66, 0xffff, v81                             // 000000006EAC: 2684A2FF 0000FFFF
	v_lshrrev_b32_e32 v67, 16, v81                             // 000000006EB4: 2086A290
	v_cvt_f32_f16_e32 v80, v64                                 // 000000006EB8: 7EA01740
	v_cvt_f32_f16_e32 v81, v65                                 // 000000006EBC: 7EA21741
	v_cvt_f32_f16_e32 v82, v66                                 // 000000006EC0: 7EA41742
	v_cvt_f32_f16_e32 v83, v67                                 // 000000006EC4: 7EA61743
	v_and_b32_e32 v64, 0xffff, v84                             // 000000006EC8: 2680A8FF 0000FFFF
	v_lshrrev_b32_e32 v65, 16, v84                             // 000000006ED0: 2082A890
	v_and_b32_e32 v66, 0xffff, v85                             // 000000006ED4: 2684AAFF 0000FFFF
	v_lshrrev_b32_e32 v67, 16, v85                             // 000000006EDC: 2086AA90
	v_cvt_f32_f16_e32 v84, v64                                 // 000000006EE0: 7EA81740
	v_cvt_f32_f16_e32 v85, v65                                 // 000000006EE4: 7EAA1741
	v_cvt_f32_f16_e32 v86, v66                                 // 000000006EE8: 7EAC1742
	v_cvt_f32_f16_e32 v87, v67                                 // 000000006EEC: 7EAE1743
	v_mov_b32_e32 v48, 0x358637bd                              // 000000006EF0: 7E6002FF 358637BD
	v_max3_f32 v48, |v80|, |v81|, v48                          // 000000006EF8: D1D30330 04C2A350
	v_max3_f32 v48, |v82|, |v83|, v48                          // 000000006F00: D1D30330 04C2A752
	v_max3_f32 v48, |v84|, |v85|, v48                          // 000000006F08: D1D30330 04C2AB54
	v_max3_f32 v48, |v86|, |v87|, v48                          // 000000006F10: D1D30330 04C2AF56
	ds_write_b32 v8, v48 offset:16896                          // 000000006F18: D81A4200 00003008
	s_waitcnt lgkmcnt(0)                                       // 000000006F20: BF8CC07F
	s_barrier                                                  // 000000006F24: BF8A0000
	ds_read_b32 v64, v7 offset:16896                           // 000000006F28: D86C4200 40000007
	ds_read_b32 v65, v7 offset:16960                           // 000000006F30: D86C4240 41000007
	ds_read_b32 v66, v7 offset:17024                           // 000000006F38: D86C4280 42000007
	ds_read_b32 v67, v7 offset:17088                           // 000000006F40: D86C42C0 43000007
	ds_read_b32 v68, v7 offset:17152                           // 000000006F48: D86C4300 44000007
	ds_read_b32 v69, v7 offset:17216                           // 000000006F50: D86C4340 45000007
	ds_read_b32 v70, v7 offset:17280                           // 000000006F58: D86C4380 46000007
	ds_read_b32 v71, v7 offset:17344                           // 000000006F60: D86C43C0 47000007
	ds_read_b32 v72, v7 offset:17408                           // 000000006F68: D86C4400 48000007
	ds_read_b32 v73, v7 offset:17472                           // 000000006F70: D86C4440 49000007
	ds_read_b32 v74, v7 offset:17536                           // 000000006F78: D86C4480 4A000007
	ds_read_b32 v75, v7 offset:17600                           // 000000006F80: D86C44C0 4B000007
	ds_read_b32 v76, v7 offset:17664                           // 000000006F88: D86C4500 4C000007
	ds_read_b32 v77, v7 offset:17728                           // 000000006F90: D86C4540 4D000007
	ds_read_b32 v78, v7 offset:17792                           // 000000006F98: D86C4580 4E000007
	ds_read_b32 v79, v7 offset:17856                           // 000000006FA0: D86C45C0 4F000007
	s_waitcnt lgkmcnt(0)                                       // 000000006FA8: BF8CC07F
	v_max3_f32 v48, |v64|, |v65|, v48                          // 000000006FAC: D1D30330 04C28340
	v_max3_f32 v48, |v66|, |v67|, v48                          // 000000006FB4: D1D30330 04C28742
	v_max3_f32 v48, |v68|, |v69|, v48                          // 000000006FBC: D1D30330 04C28B44
	v_max3_f32 v48, |v70|, |v71|, v48                          // 000000006FC4: D1D30330 04C28F46
	v_max3_f32 v48, |v72|, |v73|, v48                          // 000000006FCC: D1D30330 04C29348
	v_max3_f32 v48, |v74|, |v75|, v48                          // 000000006FD4: D1D30330 04C2974A
	v_max3_f32 v48, |v76|, |v77|, v48                          // 000000006FDC: D1D30330 04C29B4C
	v_max3_f32 v48, |v78|, |v79|, v48                          // 000000006FE4: D1D30330 04C29F4E
	v_rcp_f32_e32 v48, v48                                     // 000000006FEC: 7E604530
	s_nop 1                                                    // 000000006FF0: BF800001
	v_mul_f32_e32 v48, 0x42fe0000, v48                         // 000000006FF4: 0A6060FF 42FE0000
	v_mul_f32_e32 v80, v48, v80                                // 000000006FFC: 0AA0A130
	v_mul_f32_e32 v81, v48, v81                                // 000000007000: 0AA2A330
	v_mul_f32_e32 v82, v48, v82                                // 000000007004: 0AA4A530
	v_mul_f32_e32 v83, v48, v83                                // 000000007008: 0AA6A730
	v_mul_f32_e32 v84, v48, v84                                // 00000000700C: 0AA8A930
	v_mul_f32_e32 v85, v48, v85                                // 000000007010: 0AAAAB30
	v_mul_f32_e32 v86, v48, v86                                // 000000007014: 0AACAD30
	v_mul_f32_e32 v87, v48, v87                                // 000000007018: 0AAEAF30
	v_cvt_i32_f32_e32 v80, v80                                 // 00000000701C: 7EA01150
	v_cvt_i32_f32_e32 v81, v81                                 // 000000007020: 7EA21151
	v_cvt_i32_f32_e32 v82, v82                                 // 000000007024: 7EA41152
	v_cvt_i32_f32_e32 v83, v83                                 // 000000007028: 7EA61153
	v_cvt_i32_f32_e32 v84, v84                                 // 00000000702C: 7EA81154
	v_cvt_i32_f32_e32 v85, v85                                 // 000000007030: 7EAA1155
	v_cvt_i32_f32_e32 v86, v86                                 // 000000007034: 7EAC1156
	v_cvt_i32_f32_e32 v87, v87                                 // 000000007038: 7EAE1157
	v_rcp_f32_e32 v18, v48                                     // 00000000703C: 7E244530
	v_perm_b32 v80, v81, v80, s53                              // 000000007040: D1ED0050 00D6A151
	v_perm_b32 v80, v82, v80, s54                              // 000000007048: D1ED0050 00DAA152
	v_perm_b32 v80, v83, v80, s55                              // 000000007050: D1ED0050 00DEA153
	v_perm_b32 v81, v85, v84, s53                              // 000000007058: D1ED0051 00D6A955
	v_perm_b32 v81, v86, v81, s54                              // 000000007060: D1ED0051 00DAA356
	v_perm_b32 v81, v87, v81, s55                              // 000000007068: D1ED0051 00DEA357
	ds_write_b32 v10, v80 offset:25088                         // 000000007070: D81A6200 0000500A
	ds_write_b32 v10, v81 offset:26112                         // 000000007078: D81A6600 0000510A
	s_waitcnt lgkmcnt(0)                                       // 000000007080: BF8CC07F
	s_barrier                                                  // 000000007084: BF8A0000
	ds_read_b64 v[80:81], v9 offset:25088                      // 000000007088: D8EC6200 50000009
	ds_read_b64 v[82:83], v9 offset:25216                      // 000000007090: D8EC6280 52000009
	ds_read_b64 v[84:85], v9 offset:26112                      // 000000007098: D8EC6600 54000009
	ds_read_b64 v[86:87], v9 offset:26240                      // 0000000070A0: D8EC6680 56000009
	v_mov_b32_e32 v208, 0                                      // 0000000070A8: 7FA00280
	v_mov_b32_e32 v209, 0                                      // 0000000070AC: 7FA20280
	v_mov_b32_e32 v210, 0                                      // 0000000070B0: 7FA40280
	v_mov_b32_e32 v211, 0                                      // 0000000070B4: 7FA60280
	v_mov_b32_e32 v212, 0                                      // 0000000070B8: 7FA80280
	v_mov_b32_e32 v213, 0                                      // 0000000070BC: 7FAA0280
	v_mov_b32_e32 v214, 0                                      // 0000000070C0: 7FAC0280
	v_mov_b32_e32 v215, 0                                      // 0000000070C4: 7FAE0280
	v_mov_b32_e32 v176, 0                                      // 0000000070C8: 7F600280
	v_mov_b32_e32 v177, 0                                      // 0000000070CC: 7F620280
	v_mov_b32_e32 v178, 0                                      // 0000000070D0: 7F640280
	v_mov_b32_e32 v179, 0                                      // 0000000070D4: 7F660280
	v_mov_b32_e32 v180, 0                                      // 0000000070D8: 7F680280
	v_mov_b32_e32 v181, 0                                      // 0000000070DC: 7F6A0280
	v_mov_b32_e32 v182, 0                                      // 0000000070E0: 7F6C0280
	v_mov_b32_e32 v183, 0                                      // 0000000070E4: 7F6E0280
	ds_read_b64 v[88:89], v4 offset:4224                       // 0000000070E8: D8EC1080 58000004
	ds_read_b64 v[92:93], v4 offset:4352                       // 0000000070F0: D8EC1100 5C000004
	s_waitcnt lgkmcnt(0)                                       // 0000000070F8: BF8CC07F
	v_and_b32_e32 v64, 0xffff, v88                             // 0000000070FC: 2680B0FF 0000FFFF
	v_lshrrev_b32_e32 v65, 16, v88                             // 000000007104: 2082B090
	v_and_b32_e32 v66, 0xffff, v89                             // 000000007108: 2684B2FF 0000FFFF
	v_lshrrev_b32_e32 v67, 16, v89                             // 000000007110: 2086B290
	v_cvt_f32_f16_e32 v88, v64                                 // 000000007114: 7EB01740
	v_cvt_f32_f16_e32 v89, v65                                 // 000000007118: 7EB21741
	v_cvt_f32_f16_e32 v90, v66                                 // 00000000711C: 7EB41742
	v_cvt_f32_f16_e32 v91, v67                                 // 000000007120: 7EB61743
	v_and_b32_e32 v64, 0xffff, v92                             // 000000007124: 2680B8FF 0000FFFF
	v_lshrrev_b32_e32 v65, 16, v92                             // 00000000712C: 2082B890
	v_and_b32_e32 v66, 0xffff, v93                             // 000000007130: 2684BAFF 0000FFFF
	v_lshrrev_b32_e32 v67, 16, v93                             // 000000007138: 2086BA90
	v_cvt_f32_f16_e32 v92, v64                                 // 00000000713C: 7EB81740
	v_cvt_f32_f16_e32 v93, v65                                 // 000000007140: 7EBA1741
	v_cvt_f32_f16_e32 v94, v66                                 // 000000007144: 7EBC1742
	v_cvt_f32_f16_e32 v95, v67                                 // 000000007148: 7EBE1743
	v_mov_b32_e32 v48, 0x358637bd                              // 00000000714C: 7E6002FF 358637BD
	v_max3_f32 v48, |v88|, |v89|, v48                          // 000000007154: D1D30330 04C2B358
	v_max3_f32 v48, |v90|, |v91|, v48                          // 00000000715C: D1D30330 04C2B75A
	v_max3_f32 v48, |v92|, |v93|, v48                          // 000000007164: D1D30330 04C2BB5C
	v_max3_f32 v48, |v94|, |v95|, v48                          // 00000000716C: D1D30330 04C2BF5E
	ds_write_b32 v8, v48 offset:16896                          // 000000007174: D81A4200 00003008
	s_waitcnt lgkmcnt(0)                                       // 00000000717C: BF8CC07F
	s_barrier                                                  // 000000007180: BF8A0000
	ds_read_b32 v64, v7 offset:16896                           // 000000007184: D86C4200 40000007
	ds_read_b32 v65, v7 offset:16960                           // 00000000718C: D86C4240 41000007
	ds_read_b32 v66, v7 offset:17024                           // 000000007194: D86C4280 42000007
	ds_read_b32 v67, v7 offset:17088                           // 00000000719C: D86C42C0 43000007
	ds_read_b32 v68, v7 offset:17152                           // 0000000071A4: D86C4300 44000007
	ds_read_b32 v69, v7 offset:17216                           // 0000000071AC: D86C4340 45000007
	ds_read_b32 v70, v7 offset:17280                           // 0000000071B4: D86C4380 46000007
	ds_read_b32 v71, v7 offset:17344                           // 0000000071BC: D86C43C0 47000007
	ds_read_b32 v72, v7 offset:17408                           // 0000000071C4: D86C4400 48000007
	ds_read_b32 v73, v7 offset:17472                           // 0000000071CC: D86C4440 49000007
	ds_read_b32 v74, v7 offset:17536                           // 0000000071D4: D86C4480 4A000007
	ds_read_b32 v75, v7 offset:17600                           // 0000000071DC: D86C44C0 4B000007
	ds_read_b32 v76, v7 offset:17664                           // 0000000071E4: D86C4500 4C000007
	ds_read_b32 v77, v7 offset:17728                           // 0000000071EC: D86C4540 4D000007
	ds_read_b32 v78, v7 offset:17792                           // 0000000071F4: D86C4580 4E000007
	ds_read_b32 v79, v7 offset:17856                           // 0000000071FC: D86C45C0 4F000007
	s_waitcnt lgkmcnt(0)                                       // 000000007204: BF8CC07F
	v_max3_f32 v48, |v64|, |v65|, v48                          // 000000007208: D1D30330 04C28340
	v_max3_f32 v48, |v66|, |v67|, v48                          // 000000007210: D1D30330 04C28742
	v_max3_f32 v48, |v68|, |v69|, v48                          // 000000007218: D1D30330 04C28B44
	v_max3_f32 v48, |v70|, |v71|, v48                          // 000000007220: D1D30330 04C28F46
	v_max3_f32 v48, |v72|, |v73|, v48                          // 000000007228: D1D30330 04C29348
	v_max3_f32 v48, |v74|, |v75|, v48                          // 000000007230: D1D30330 04C2974A
	v_max3_f32 v48, |v76|, |v77|, v48                          // 000000007238: D1D30330 04C29B4C
	v_max3_f32 v48, |v78|, |v79|, v48                          // 000000007240: D1D30330 04C29F4E
	v_rcp_f32_e32 v48, v48                                     // 000000007248: 7E604530
	s_nop 1                                                    // 00000000724C: BF800001
	v_mul_f32_e32 v48, 0x42fe0000, v48                         // 000000007250: 0A6060FF 42FE0000
	v_mul_f32_e32 v88, v48, v88                                // 000000007258: 0AB0B130
	v_mul_f32_e32 v89, v48, v89                                // 00000000725C: 0AB2B330
	v_mul_f32_e32 v90, v48, v90                                // 000000007260: 0AB4B530
	v_mul_f32_e32 v91, v48, v91                                // 000000007264: 0AB6B730
	v_mul_f32_e32 v92, v48, v92                                // 000000007268: 0AB8B930
	v_mul_f32_e32 v93, v48, v93                                // 00000000726C: 0ABABB30
	v_mul_f32_e32 v94, v48, v94                                // 000000007270: 0ABCBD30
	v_mul_f32_e32 v95, v48, v95                                // 000000007274: 0ABEBF30
	v_cvt_i32_f32_e32 v88, v88                                 // 000000007278: 7EB01158
	v_cvt_i32_f32_e32 v89, v89                                 // 00000000727C: 7EB21159
	v_cvt_i32_f32_e32 v90, v90                                 // 000000007280: 7EB4115A
	v_cvt_i32_f32_e32 v91, v91                                 // 000000007284: 7EB6115B
	v_cvt_i32_f32_e32 v92, v92                                 // 000000007288: 7EB8115C
	v_cvt_i32_f32_e32 v93, v93                                 // 00000000728C: 7EBA115D
	v_cvt_i32_f32_e32 v94, v94                                 // 000000007290: 7EBC115E
	v_cvt_i32_f32_e32 v95, v95                                 // 000000007294: 7EBE115F
	v_rcp_f32_e32 v19, v48                                     // 000000007298: 7E264530
	v_perm_b32 v88, v89, v88, s53                              // 00000000729C: D1ED0058 00D6B159
	v_perm_b32 v88, v90, v88, s54                              // 0000000072A4: D1ED0058 00DAB15A
	v_perm_b32 v88, v91, v88, s55                              // 0000000072AC: D1ED0058 00DEB15B
	v_perm_b32 v89, v93, v92, s53                              // 0000000072B4: D1ED0059 00D6B95D
	v_perm_b32 v89, v94, v89, s54                              // 0000000072BC: D1ED0059 00DAB35E
	v_perm_b32 v89, v95, v89, s55                              // 0000000072C4: D1ED0059 00DEB35F
	ds_write_b32 v10, v88 offset:25088                         // 0000000072CC: D81A6200 0000580A
	ds_write_b32 v10, v89 offset:26112                         // 0000000072D4: D81A6600 0000590A
	s_waitcnt lgkmcnt(0)                                       // 0000000072DC: BF8CC07F
	s_barrier                                                  // 0000000072E0: BF8A0000
	ds_read_b64 v[88:89], v9 offset:25088                      // 0000000072E4: D8EC6200 58000009
	ds_read_b64 v[90:91], v9 offset:25216                      // 0000000072EC: D8EC6280 5A000009
	ds_read_b64 v[92:93], v9 offset:26112                      // 0000000072F4: D8EC6600 5C000009
	ds_read_b64 v[94:95], v9 offset:26240                      // 0000000072FC: D8EC6680 5E000009
	v_mov_b32_e32 v216, 0                                      // 000000007304: 7FB00280
	v_mov_b32_e32 v217, 0                                      // 000000007308: 7FB20280
	v_mov_b32_e32 v218, 0                                      // 00000000730C: 7FB40280
	v_mov_b32_e32 v219, 0                                      // 000000007310: 7FB60280
	v_mov_b32_e32 v220, 0                                      // 000000007314: 7FB80280
	v_mov_b32_e32 v221, 0                                      // 000000007318: 7FBA0280
	v_mov_b32_e32 v222, 0                                      // 00000000731C: 7FBC0280
	v_mov_b32_e32 v223, 0                                      // 000000007320: 7FBE0280
	v_mov_b32_e32 v184, 0                                      // 000000007324: 7F700280
	v_mov_b32_e32 v185, 0                                      // 000000007328: 7F720280
	v_mov_b32_e32 v186, 0                                      // 00000000732C: 7F740280
	v_mov_b32_e32 v187, 0                                      // 000000007330: 7F760280
	v_mov_b32_e32 v188, 0                                      // 000000007334: 7F780280
	v_mov_b32_e32 v189, 0                                      // 000000007338: 7F7A0280
	v_mov_b32_e32 v190, 0                                      // 00000000733C: 7F7C0280
	v_mov_b32_e32 v191, 0                                      // 000000007340: 7F7E0280
	s_waitcnt vmcnt(8) lgkmcnt(0)                              // 000000007344: BF8C0078
	s_barrier                                                  // 000000007348: BF8A0000
	s_cmp_lt_u32 s73, 16                                       // 00000000734C: BF0A9049
	s_cbranch_scc1 label_26D4                                  // 000000007350: BF85127F
	s_cmp_lt_i32 s7, 2                                         // 000000007354: BF048207
	s_cbranch_scc0 label_1D97                                  // 000000007358: BF840940

000000000000735c <label_1457>:
	s_waitcnt vmcnt(8) lgkmcnt(0)                              // 00000000735C: BF8C0078
	v_mul_u32_u24_dpp v64, v17, v54 row_newbcast:0 row_mask:0xf bank_mask:0xf// 000000007360: 10806CFA FF015011
	v_mul_u32_u24_dpp v65, v17, v54 row_newbcast:4 row_mask:0xf bank_mask:0xf// 000000007368: 10826CFA FF015411
	v_mul_u32_u24_dpp v66, v17, v54 row_newbcast:8 row_mask:0xf bank_mask:0xf// 000000007370: 10846CFA FF015811
	v_mul_u32_u24_dpp v67, v17, v54 row_newbcast:12 row_mask:0xf bank_mask:0xf// 000000007378: 10866CFA FF015C11
	v_add_u32_e32 v26, v64, v5                                 // 000000007380: 68340B40
	v_add_u32_e32 v27, v65, v5                                 // 000000007384: 68360B41
	v_add_u32_e32 v28, v66, v5                                 // 000000007388: 68380B42
	v_add_u32_e32 v29, v67, v5                                 // 00000000738C: 683A0B43
	v_mul_u32_u24_dpp v64, v17, v63 quad_perm:[0,0,0,0] row_mask:0xf bank_mask:0xf// 000000007390: 10807EFA FF000011
	v_add_u32_e32 v3, v64, v59                                 // 000000007398: 68067740
	v_mul_u32_u24_dpp v64, v17, v63 quad_perm:[0,0,0,0] row_mask:0xf bank_mask:0xf// 00000000739C: 10807EFA FF000011
	v_add_u32_e32 v56, v64, v60                                // 0000000073A4: 68707940
	v_mfma_i32_16x16x32_i8 v[112:115], a[0:1], v[80:81], 0     // 0000000073A8: D3D70070 0A02A100
	v_mfma_i32_16x16x32_i8 v[112:115], a[2:3], v[82:83], v[112:115]// 0000000073B0: D3D70070 0DC2A502
	buffer_load_dwordx4 a[32:35], v26, s[16:19], 0 offen       // 0000000073B8: E05C1000 8084201A
	v_mfma_i32_16x16x32_i8 v[112:115], a[4:5], v[84:85], v[112:115]// 0000000073C0: D3D70070 0DC2A904
	v_mfma_i32_16x16x32_i8 v[112:115], a[6:7], v[86:87], v[112:115]// 0000000073C8: D3D70070 0DC2AD06
	buffer_load_dword v16, v1, s[24:27], 0 offen               // 0000000073D0: E0501000 80061001
	v_mfma_i32_16x16x32_i8 v[116:119], a[8:9], v[80:81], 0     // 0000000073D8: D3D70074 0A02A108
	v_mfma_i32_16x16x32_i8 v[116:119], a[10:11], v[82:83], v[116:119]// 0000000073E0: D3D70074 0DD2A50A
	buffer_load_dwordx4 a[36:39], v26, s[16:19], 0 offen offset:1024// 0000000073E8: E05C1400 8084241A
	v_mfma_i32_16x16x32_i8 v[116:119], a[12:13], v[84:85], v[116:119]// 0000000073F0: D3D70074 0DD2A90C
	v_mfma_i32_16x16x32_i8 v[116:119], a[14:15], v[86:87], v[116:119]// 0000000073F8: D3D70074 0DD2AD0E
	v_mfma_i32_16x16x32_i8 v[120:123], a[16:17], v[80:81], 0   // 000000007400: D3D70078 0A02A110
	v_mfma_i32_16x16x32_i8 v[120:123], a[18:19], v[82:83], v[120:123]// 000000007408: D3D70078 0DE2A512
	buffer_load_dwordx4 a[40:43], v27, s[16:19], 0 offen       // 000000007410: E05C1000 8084281B
	v_mfma_i32_16x16x32_i8 v[120:123], a[20:21], v[84:85], v[120:123]// 000000007418: D3D70078 0DE2A914
	v_mfma_i32_16x16x32_i8 v[120:123], a[22:23], v[86:87], v[120:123]// 000000007420: D3D70078 0DE2AD16
	v_mfma_i32_16x16x32_i8 v[124:127], a[24:25], v[80:81], 0   // 000000007428: D3D7007C 0A02A118
	v_mfma_i32_16x16x32_i8 v[124:127], a[26:27], v[82:83], v[124:127]// 000000007430: D3D7007C 0DF2A51A
	buffer_load_dwordx4 a[44:47], v27, s[16:19], 0 offen offset:1024// 000000007438: E05C1400 80842C1B
	v_mfma_i32_16x16x32_i8 v[124:127], a[28:29], v[84:85], v[124:127]// 000000007440: D3D7007C 0DF2A91C
	v_mfma_i32_16x16x32_i8 v[124:127], a[30:31], v[86:87], v[124:127]// 000000007448: D3D7007C 0DF2AD1E
	v_mfma_i32_16x16x32_i8 v[128:131], a[0:1], v[88:89], 0     // 000000007450: D3D70080 0A02B100
	v_mfma_i32_16x16x32_i8 v[128:131], a[2:3], v[90:91], v[128:131]// 000000007458: D3D70080 0E02B502
	v_mfma_i32_16x16x32_i8 v[128:131], a[4:5], v[92:93], v[128:131]// 000000007460: D3D70080 0E02B904
	v_mfma_i32_16x16x32_i8 v[128:131], a[6:7], v[94:95], v[128:131]// 000000007468: D3D70080 0E02BD06
	v_mfma_i32_16x16x32_i8 v[132:135], a[8:9], v[88:89], 0     // 000000007470: D3D70084 0A02B108
	v_mfma_i32_16x16x32_i8 v[132:135], a[10:11], v[90:91], v[132:135]// 000000007478: D3D70084 0E12B50A
	v_mfma_i32_16x16x32_i8 v[132:135], a[12:13], v[92:93], v[132:135]// 000000007480: D3D70084 0E12B90C
	v_mfma_i32_16x16x32_i8 v[132:135], a[14:15], v[94:95], v[132:135]// 000000007488: D3D70084 0E12BD0E
	v_mfma_i32_16x16x32_i8 v[136:139], a[16:17], v[88:89], 0   // 000000007490: D3D70088 0A02B110
	v_mfma_i32_16x16x32_i8 v[136:139], a[18:19], v[90:91], v[136:139]// 000000007498: D3D70088 0E22B512
	v_mfma_i32_16x16x32_i8 v[136:139], a[20:21], v[92:93], v[136:139]// 0000000074A0: D3D70088 0E22B914
	v_mfma_i32_16x16x32_i8 v[136:139], a[22:23], v[94:95], v[136:139]// 0000000074A8: D3D70088 0E22BD16
	v_mfma_i32_16x16x32_i8 v[140:143], a[24:25], v[88:89], 0   // 0000000074B0: D3D7008C 0A02B118
	v_mfma_i32_16x16x32_i8 v[140:143], a[26:27], v[90:91], v[140:143]// 0000000074B8: D3D7008C 0E32B51A
	v_mfma_i32_16x16x32_i8 v[140:143], a[28:29], v[92:93], v[140:143]// 0000000074C0: D3D7008C 0E32B91C
	v_mfma_i32_16x16x32_i8 v[140:143], a[30:31], v[94:95], v[140:143]// 0000000074C8: D3D7008C 0E32BD1E
	buffer_load_dword v43, v3, s[32:35], 0 offen               // 0000000074D0: E0501000 80082B03
	v_mov_b32_dpp v64, v42 row_shr:4 row_mask:0xf bank_mask:0xf// 0000000074D8: 7E8002FA FF01142A
	v_mov_b32_dpp v65, v42 row_shl:4 row_mask:0xf bank_mask:0xf// 0000000074E0: 7E8202FA FF01042A
	v_cndmask_b32_e64 v248, v42, v64, s[44:45]                 // 0000000074E8: D10000F8 00B2812A
	v_cndmask_b32_e64 v249, v65, v42, s[44:45]                 // 0000000074F0: D10000F9 00B25541
	v_mov_b32_dpp v64, v248 row_shr:8 row_mask:0xf bank_mask:0xf// 0000000074F8: 7E8002FA FF0118F8
	v_mov_b32_dpp v65, v248 row_shl:8 row_mask:0xf bank_mask:0xf// 000000007500: 7E8202FA FF0108F8
	v_mov_b32_dpp v66, v249 row_shr:8 row_mask:0xf bank_mask:0xf// 000000007508: 7E8402FA FF0118F9
	v_mov_b32_dpp v67, v249 row_shl:8 row_mask:0xf bank_mask:0xf// 000000007510: 7E8602FA FF0108F9
	v_mov_b32_e32 v68, v248                                    // 000000007518: 7E8803F8
	v_mov_b32_e32 v69, v249                                    // 00000000751C: 7E8A03F9
	v_cndmask_b32_e64 v248, v68, v64, s[42:43]                 // 000000007520: D10000F8 00AA8144
	v_cndmask_b32_e64 v250, v68, v65, s[78:79]                 // 000000007528: D10000FA 013A8344
	v_cndmask_b32_e64 v249, v69, v66, s[42:43]                 // 000000007530: D10000F9 00AA8545
	v_cndmask_b32_e64 v251, v69, v67, s[78:79]                 // 000000007538: D10000FB 013A8745
	v_mov_b32_dpp v64, v57 row_shr:4 row_mask:0xf bank_mask:0xf// 000000007540: 7E8002FA FF011439
	v_mov_b32_dpp v65, v57 row_shl:4 row_mask:0xf bank_mask:0xf// 000000007548: 7E8202FA FF010439
	v_cndmask_b32_e64 v252, v57, v64, s[44:45]                 // 000000007550: D10000FC 00B28139
	v_cndmask_b32_e64 v253, v65, v57, s[44:45]                 // 000000007558: D10000FD 00B27341
	v_mov_b32_dpp v64, v252 row_shr:8 row_mask:0xf bank_mask:0xf// 000000007560: 7E8002FA FF0118FC
	v_mov_b32_dpp v65, v252 row_shl:8 row_mask:0xf bank_mask:0xf// 000000007568: 7E8202FA FF0108FC
	v_mov_b32_dpp v66, v253 row_shr:8 row_mask:0xf bank_mask:0xf// 000000007570: 7E8402FA FF0118FD
	v_mov_b32_dpp v67, v253 row_shl:8 row_mask:0xf bank_mask:0xf// 000000007578: 7E8602FA FF0108FD
	v_mov_b32_e32 v68, v252                                    // 000000007580: 7E8803FC
	v_mov_b32_e32 v69, v253                                    // 000000007584: 7E8A03FD
	v_cndmask_b32_e64 v252, v68, v64, s[42:43]                 // 000000007588: D10000FC 00AA8144
	v_cndmask_b32_e64 v254, v68, v65, s[78:79]                 // 000000007590: D10000FE 013A8344
	v_cndmask_b32_e64 v253, v69, v66, s[42:43]                 // 000000007598: D10000FD 00AA8545
	v_cndmask_b32_e64 v255, v69, v67, s[78:79]                 // 0000000075A0: D10000FF 013A8745
	buffer_load_dword v58, v56, s[36:39], 0 offen              // 0000000075A8: E0501000 80093A38
	v_cvt_f32_i32_e32 v112, v112                               // 0000000075B0: 7EE00B70
	v_cvt_f32_i32_e32 v113, v113                               // 0000000075B4: 7EE20B71
	v_cvt_f32_i32_e32 v114, v114                               // 0000000075B8: 7EE40B72
	v_cvt_f32_i32_e32 v115, v115                               // 0000000075BC: 7EE60B73
	v_cvt_f32_i32_e32 v116, v116                               // 0000000075C0: 7EE80B74
	v_cvt_f32_i32_e32 v117, v117                               // 0000000075C4: 7EEA0B75
	v_cvt_f32_i32_e32 v118, v118                               // 0000000075C8: 7EEC0B76
	v_cvt_f32_i32_e32 v119, v119                               // 0000000075CC: 7EEE0B77
	v_cvt_f32_i32_e32 v120, v120                               // 0000000075D0: 7EF00B78
	v_cvt_f32_i32_e32 v121, v121                               // 0000000075D4: 7EF20B79
	v_cvt_f32_i32_e32 v122, v122                               // 0000000075D8: 7EF40B7A
	v_cvt_f32_i32_e32 v123, v123                               // 0000000075DC: 7EF60B7B
	v_cvt_f32_i32_e32 v124, v124                               // 0000000075E0: 7EF80B7C
	v_cvt_f32_i32_e32 v125, v125                               // 0000000075E4: 7EFA0B7D
	v_cvt_f32_i32_e32 v126, v126                               // 0000000075E8: 7EFC0B7E
	v_cvt_f32_i32_e32 v127, v127                               // 0000000075EC: 7EFE0B7F
	v_mul_f32_e32 v112, v18, v112                              // 0000000075F0: 0AE0E112
	v_mul_f32_e32 v113, v18, v113                              // 0000000075F4: 0AE2E312
	v_mul_f32_e32 v114, v18, v114                              // 0000000075F8: 0AE4E512
	v_mul_f32_e32 v115, v18, v115                              // 0000000075FC: 0AE6E712
	v_mul_f32_e32 v116, v18, v116                              // 000000007600: 0AE8E912
	v_mul_f32_e32 v117, v18, v117                              // 000000007604: 0AEAEB12
	v_mul_f32_e32 v118, v18, v118                              // 000000007608: 0AECED12
	v_mul_f32_e32 v119, v18, v119                              // 00000000760C: 0AEEEF12
	v_mul_f32_e32 v120, v18, v120                              // 000000007610: 0AF0F112
	v_mul_f32_e32 v121, v18, v121                              // 000000007614: 0AF2F312
	v_mul_f32_e32 v122, v18, v122                              // 000000007618: 0AF4F512
	v_mul_f32_e32 v123, v18, v123                              // 00000000761C: 0AF6F712
	v_mul_f32_e32 v124, v18, v124                              // 000000007620: 0AF8F912
	v_mul_f32_e32 v125, v18, v125                              // 000000007624: 0AFAFB12
	v_mul_f32_e32 v126, v18, v126                              // 000000007628: 0AFCFD12
	v_mul_f32_e32 v127, v18, v127                              // 00000000762C: 0AFEFF12
	buffer_load_dwordx4 a[48:51], v28, s[16:19], 0 offen       // 000000007630: E05C1000 8084301C
	v_mul_f32_dpp v112, v248, v112 quad_perm:[0,0,0,0] row_mask:0xf bank_mask:0xf// 000000007638: 0AE0E0FA FF0000F8
	v_mul_f32_dpp v113, v248, v113 quad_perm:[1,1,1,1] row_mask:0xf bank_mask:0xf// 000000007640: 0AE2E2FA FF0055F8
	v_mul_f32_dpp v114, v248, v114 quad_perm:[2,2,2,2] row_mask:0xf bank_mask:0xf// 000000007648: 0AE4E4FA FF00AAF8
	v_mul_f32_dpp v115, v248, v115 quad_perm:[3,3,3,3] row_mask:0xf bank_mask:0xf// 000000007650: 0AE6E6FA FF00FFF8
	v_mul_f32_dpp v116, v249, v116 quad_perm:[0,0,0,0] row_mask:0xf bank_mask:0xf// 000000007658: 0AE8E8FA FF0000F9
	v_mul_f32_dpp v117, v249, v117 quad_perm:[1,1,1,1] row_mask:0xf bank_mask:0xf// 000000007660: 0AEAEAFA FF0055F9
	v_mul_f32_dpp v118, v249, v118 quad_perm:[2,2,2,2] row_mask:0xf bank_mask:0xf// 000000007668: 0AECECFA FF00AAF9
	v_mul_f32_dpp v119, v249, v119 quad_perm:[3,3,3,3] row_mask:0xf bank_mask:0xf// 000000007670: 0AEEEEFA FF00FFF9
	v_mul_f32_dpp v120, v250, v120 quad_perm:[0,0,0,0] row_mask:0xf bank_mask:0xf// 000000007678: 0AF0F0FA FF0000FA
	v_mul_f32_dpp v121, v250, v121 quad_perm:[1,1,1,1] row_mask:0xf bank_mask:0xf// 000000007680: 0AF2F2FA FF0055FA
	v_mul_f32_dpp v122, v250, v122 quad_perm:[2,2,2,2] row_mask:0xf bank_mask:0xf// 000000007688: 0AF4F4FA FF00AAFA
	v_mul_f32_dpp v123, v250, v123 quad_perm:[3,3,3,3] row_mask:0xf bank_mask:0xf// 000000007690: 0AF6F6FA FF00FFFA
	v_mul_f32_dpp v124, v251, v124 quad_perm:[0,0,0,0] row_mask:0xf bank_mask:0xf// 000000007698: 0AF8F8FA FF0000FB
	v_mul_f32_dpp v125, v251, v125 quad_perm:[1,1,1,1] row_mask:0xf bank_mask:0xf// 0000000076A0: 0AFAFAFA FF0055FB
	v_mul_f32_dpp v126, v251, v126 quad_perm:[2,2,2,2] row_mask:0xf bank_mask:0xf// 0000000076A8: 0AFCFCFA FF00AAFB
	v_mul_f32_dpp v127, v251, v127 quad_perm:[3,3,3,3] row_mask:0xf bank_mask:0xf// 0000000076B0: 0AFEFEFA FF00FFFB
	buffer_load_dwordx4 a[52:55], v28, s[16:19], 0 offen offset:1024// 0000000076B8: E05C1400 8084341C
	v_mov_b32_e32 v48, v112                                    // 0000000076C0: 7E600370
	v_max3_f32 v48, v112, v113, v48                            // 0000000076C4: D1D30030 04C2E370
	v_max3_f32 v48, v114, v115, v48                            // 0000000076CC: D1D30030 04C2E772
	v_max3_f32 v48, v116, v117, v48                            // 0000000076D4: D1D30030 04C2EB74
	v_max3_f32 v48, v118, v119, v48                            // 0000000076DC: D1D30030 04C2EF76
	v_max3_f32 v48, v120, v121, v48                            // 0000000076E4: D1D30030 04C2F378
	v_max3_f32 v48, v122, v123, v48                            // 0000000076EC: D1D30030 04C2F77A
	v_max3_f32 v48, v124, v125, v48                            // 0000000076F4: D1D30030 04C2FB7C
	v_max3_f32 v48, v126, v127, v48                            // 0000000076FC: D1D30030 04C2FF7E
	ds_write_b32 v8, v48 offset:16896                          // 000000007704: D81A4200 00003008
	buffer_load_dwordx4 a[56:59], v29, s[16:19], 0 offen       // 00000000770C: E05C1000 8084381D
	v_mul_u32_u24_dpp v64, v17, v54 row_newbcast:1 row_mask:0xf bank_mask:0xf// 000000007714: 10806CFA FF015111
	v_mul_u32_u24_dpp v65, v17, v54 row_newbcast:5 row_mask:0xf bank_mask:0xf// 00000000771C: 10826CFA FF015511
	v_mul_u32_u24_dpp v66, v17, v54 row_newbcast:9 row_mask:0xf bank_mask:0xf// 000000007724: 10846CFA FF015911
	v_mul_u32_u24_dpp v67, v17, v54 row_newbcast:13 row_mask:0xf bank_mask:0xf// 00000000772C: 10866CFA FF015D11
	v_add_u32_e32 v34, v64, v6                                 // 000000007734: 68440D40
	v_add_u32_e32 v35, v65, v6                                 // 000000007738: 68460D41
	v_add_u32_e32 v36, v66, v6                                 // 00000000773C: 68480D42
	v_add_u32_e32 v37, v67, v6                                 // 000000007740: 684A0D43
	v_mul_f32_e32 v208, v49, v208                              // 000000007744: 0BA1A131
	v_mul_f32_e32 v209, v49, v209                              // 000000007748: 0BA3A331
	v_mul_f32_e32 v210, v49, v210                              // 00000000774C: 0BA5A531
	v_mul_f32_e32 v211, v49, v211                              // 000000007750: 0BA7A731
	v_mul_f32_e32 v212, v49, v212                              // 000000007754: 0BA9A931
	v_mul_f32_e32 v213, v49, v213                              // 000000007758: 0BABAB31
	v_mul_f32_e32 v214, v49, v214                              // 00000000775C: 0BADAD31
	v_mul_f32_e32 v215, v49, v215                              // 000000007760: 0BAFAF31
	s_waitcnt lgkmcnt(0)                                       // 000000007764: BF8CC07F
	s_barrier                                                  // 000000007768: BF8A0000
	ds_read_b32 v64, v7 offset:16896                           // 00000000776C: D86C4200 40000007
	ds_read_b32 v65, v7 offset:16960                           // 000000007774: D86C4240 41000007
	ds_read_b32 v66, v7 offset:17024                           // 00000000777C: D86C4280 42000007
	ds_read_b32 v67, v7 offset:17088                           // 000000007784: D86C42C0 43000007
	ds_read_b32 v68, v7 offset:17152                           // 00000000778C: D86C4300 44000007
	ds_read_b32 v69, v7 offset:17216                           // 000000007794: D86C4340 45000007
	ds_read_b32 v70, v7 offset:17280                           // 00000000779C: D86C4380 46000007
	ds_read_b32 v71, v7 offset:17344                           // 0000000077A4: D86C43C0 47000007
	ds_read_b32 v72, v7 offset:17408                           // 0000000077AC: D86C4400 48000007
	ds_read_b32 v73, v7 offset:17472                           // 0000000077B4: D86C4440 49000007
	ds_read_b32 v74, v7 offset:17536                           // 0000000077BC: D86C4480 4A000007
	ds_read_b32 v75, v7 offset:17600                           // 0000000077C4: D86C44C0 4B000007
	ds_read_b32 v76, v7 offset:17664                           // 0000000077CC: D86C4500 4C000007
	ds_read_b32 v77, v7 offset:17728                           // 0000000077D4: D86C4540 4D000007
	ds_read_b32 v78, v7 offset:17792                           // 0000000077DC: D86C4580 4E000007
	ds_read_b32 v79, v7 offset:17856                           // 0000000077E4: D86C45C0 4F000007
	buffer_load_dwordx4 a[60:63], v29, s[16:19], 0 offen offset:1024// 0000000077EC: E05C1400 80843C1D
	v_cvt_f32_i32_e32 v176, v176                               // 0000000077F4: 7F600BB0
	v_cvt_f32_i32_e32 v177, v177                               // 0000000077F8: 7F620BB1
	v_cvt_f32_i32_e32 v178, v178                               // 0000000077FC: 7F640BB2
	v_cvt_f32_i32_e32 v179, v179                               // 000000007800: 7F660BB3
	v_cvt_f32_i32_e32 v180, v180                               // 000000007804: 7F680BB4
	v_cvt_f32_i32_e32 v181, v181                               // 000000007808: 7F6A0BB5
	v_cvt_f32_i32_e32 v182, v182                               // 00000000780C: 7F6C0BB6
	v_cvt_f32_i32_e32 v183, v183                               // 000000007810: 7F6E0BB7
	v_mul_f32_e32 v176, v44, v176                              // 000000007814: 0B61612C
	v_mul_f32_e32 v177, v44, v177                              // 000000007818: 0B63632C
	v_mul_f32_e32 v178, v44, v178                              // 00000000781C: 0B65652C
	v_mul_f32_e32 v179, v44, v179                              // 000000007820: 0B67672C
	v_mul_f32_e32 v180, v44, v180                              // 000000007824: 0B69692C
	v_mul_f32_e32 v181, v44, v181                              // 000000007828: 0B6B6B2C
	v_mul_f32_e32 v182, v44, v182                              // 00000000782C: 0B6D6D2C
	v_mul_f32_e32 v183, v44, v183                              // 000000007830: 0B6F6F2C
	s_waitcnt lgkmcnt(0)                                       // 000000007834: BF8CC07F
	v_max3_f32 v48, v64, v65, v48                              // 000000007838: D1D30030 04C28340
	v_max3_f32 v48, v66, v67, v48                              // 000000007840: D1D30030 04C28742
	v_max3_f32 v48, v68, v69, v48                              // 000000007848: D1D30030 04C28B44
	v_max3_f32 v48, v70, v71, v48                              // 000000007850: D1D30030 04C28F46
	v_max3_f32 v48, v72, v73, v48                              // 000000007858: D1D30030 04C29348
	v_max3_f32 v48, v74, v75, v48                              // 000000007860: D1D30030 04C2974A
	v_max3_f32 v48, v76, v77, v48                              // 000000007868: D1D30030 04C29B4C
	v_max3_f32 v48, v78, v79, v48                              // 000000007870: D1D30030 04C29F4E
	buffer_load_dwordx4 a[96:99], v34, s[20:23], 0 offen       // 000000007878: E05C1000 80856022
	v_mov_b32_e32 v64, 0xff800000                              // 000000007880: 7E8002FF FF800000
	v_cmp_eq_u32_e64 s[40:41], v64, v11                        // 000000007888: D0CA0028 00021740
	s_nop 1                                                    // 000000007890: BF800001
	v_max_f32_e32 v15, v48, v11                                // 000000007894: 161E1730
	v_mul_f32_e32 v53, s64, v15                                // 000000007898: 0A6A1E40
	v_fma_f32 v112, v112, s64, -v53                            // 00000000789C: D1CB0070 84D48170
	v_fma_f32 v113, v113, s64, -v53                            // 0000000078A4: D1CB0071 84D48171
	v_fma_f32 v114, v114, s64, -v53                            // 0000000078AC: D1CB0072 84D48172
	v_fma_f32 v115, v115, s64, -v53                            // 0000000078B4: D1CB0073 84D48173
	v_fma_f32 v116, v116, s64, -v53                            // 0000000078BC: D1CB0074 84D48174
	v_fma_f32 v117, v117, s64, -v53                            // 0000000078C4: D1CB0075 84D48175
	v_fma_f32 v118, v118, s64, -v53                            // 0000000078CC: D1CB0076 84D48176
	v_fma_f32 v119, v119, s64, -v53                            // 0000000078D4: D1CB0077 84D48177
	v_fma_f32 v120, v120, s64, -v53                            // 0000000078DC: D1CB0078 84D48178
	v_fma_f32 v121, v121, s64, -v53                            // 0000000078E4: D1CB0079 84D48179
	v_fma_f32 v122, v122, s64, -v53                            // 0000000078EC: D1CB007A 84D4817A
	v_fma_f32 v123, v123, s64, -v53                            // 0000000078F4: D1CB007B 84D4817B
	v_fma_f32 v124, v124, s64, -v53                            // 0000000078FC: D1CB007C 84D4817C
	v_fma_f32 v125, v125, s64, -v53                            // 000000007904: D1CB007D 84D4817D
	v_fma_f32 v126, v126, s64, -v53                            // 00000000790C: D1CB007E 84D4817E
	v_fma_f32 v127, v127, s64, -v53                            // 000000007914: D1CB007F 84D4817F
	buffer_load_dwordx4 a[100:103], v35, s[20:23], 0 offen     // 00000000791C: E05C1000 80856423
	v_exp_f32_e32 v112, v112                                   // 000000007924: 7EE04170
	v_exp_f32_e32 v113, v113                                   // 000000007928: 7EE24171
	v_exp_f32_e32 v114, v114                                   // 00000000792C: 7EE44172
	v_exp_f32_e32 v115, v115                                   // 000000007930: 7EE64173
	v_exp_f32_e32 v116, v116                                   // 000000007934: 7EE84174
	v_exp_f32_e32 v117, v117                                   // 000000007938: 7EEA4175
	v_exp_f32_e32 v118, v118                                   // 00000000793C: 7EEC4176
	v_exp_f32_e32 v119, v119                                   // 000000007940: 7EEE4177
	v_exp_f32_e32 v120, v120                                   // 000000007944: 7EF04178
	v_exp_f32_e32 v121, v121                                   // 000000007948: 7EF24179
	v_exp_f32_e32 v122, v122                                   // 00000000794C: 7EF4417A
	v_exp_f32_e32 v123, v123                                   // 000000007950: 7EF6417B
	v_exp_f32_e32 v124, v124                                   // 000000007954: 7EF8417C
	v_exp_f32_e32 v125, v125                                   // 000000007958: 7EFA417D
	v_exp_f32_e32 v126, v126                                   // 00000000795C: 7EFC417E
	v_exp_f32_e32 v127, v127                                   // 000000007960: 7EFE417F
	buffer_load_dwordx4 a[104:107], v36, s[20:23], 0 offen     // 000000007964: E05C1000 80856824
	v_mul_f32_dpp v240, v252, v112 quad_perm:[0,0,0,0] row_mask:0xf bank_mask:0xf// 00000000796C: 0BE0E0FA FF0000FC
	v_mul_f32_dpp v241, v252, v113 quad_perm:[1,1,1,1] row_mask:0xf bank_mask:0xf// 000000007974: 0BE2E2FA FF0055FC
	v_mul_f32_dpp v242, v252, v114 quad_perm:[2,2,2,2] row_mask:0xf bank_mask:0xf// 00000000797C: 0BE4E4FA FF00AAFC
	v_mul_f32_dpp v243, v252, v115 quad_perm:[3,3,3,3] row_mask:0xf bank_mask:0xf// 000000007984: 0BE6E6FA FF00FFFC
	v_mul_f32_dpp v244, v253, v116 quad_perm:[0,0,0,0] row_mask:0xf bank_mask:0xf// 00000000798C: 0BE8E8FA FF0000FD
	v_mul_f32_dpp v245, v253, v117 quad_perm:[1,1,1,1] row_mask:0xf bank_mask:0xf// 000000007994: 0BEAEAFA FF0055FD
	v_mul_f32_dpp v246, v253, v118 quad_perm:[2,2,2,2] row_mask:0xf bank_mask:0xf// 00000000799C: 0BECECFA FF00AAFD
	v_mul_f32_dpp v247, v253, v119 quad_perm:[3,3,3,3] row_mask:0xf bank_mask:0xf// 0000000079A4: 0BEEEEFA FF00FFFD
	v_mul_f32_dpp v248, v254, v120 quad_perm:[0,0,0,0] row_mask:0xf bank_mask:0xf// 0000000079AC: 0BF0F0FA FF0000FE
	v_mul_f32_dpp v249, v254, v121 quad_perm:[1,1,1,1] row_mask:0xf bank_mask:0xf// 0000000079B4: 0BF2F2FA FF0055FE
	v_mul_f32_dpp v250, v254, v122 quad_perm:[2,2,2,2] row_mask:0xf bank_mask:0xf// 0000000079BC: 0BF4F4FA FF00AAFE
	v_mul_f32_dpp v251, v254, v123 quad_perm:[3,3,3,3] row_mask:0xf bank_mask:0xf// 0000000079C4: 0BF6F6FA FF00FFFE
	v_mul_f32_dpp v252, v255, v124 quad_perm:[0,0,0,0] row_mask:0xf bank_mask:0xf// 0000000079CC: 0BF8F8FA FF0000FF
	v_mul_f32_dpp v253, v255, v125 quad_perm:[1,1,1,1] row_mask:0xf bank_mask:0xf// 0000000079D4: 0BFAFAFA FF0055FF
	v_mul_f32_dpp v254, v255, v126 quad_perm:[2,2,2,2] row_mask:0xf bank_mask:0xf// 0000000079DC: 0BFCFCFA FF00AAFF
	v_mul_f32_dpp v255, v255, v127 quad_perm:[3,3,3,3] row_mask:0xf bank_mask:0xf// 0000000079E4: 0BFEFEFA FF00FFFF
	v_mov_b32_e32 v48, 0x358637bd                              // 0000000079EC: 7E6002FF 358637BD
	v_max3_f32 v48, |v240|, |v241|, v48                        // 0000000079F4: D1D30330 04C3E3F0
	v_max3_f32 v48, |v242|, |v243|, v48                        // 0000000079FC: D1D30330 04C3E7F2
	v_max3_f32 v48, |v244|, |v245|, v48                        // 000000007A04: D1D30330 04C3EBF4
	v_max3_f32 v48, |v246|, |v247|, v48                        // 000000007A0C: D1D30330 04C3EFF6
	v_max3_f32 v48, |v248|, |v249|, v48                        // 000000007A14: D1D30330 04C3F3F8
	v_max3_f32 v48, |v250|, |v251|, v48                        // 000000007A1C: D1D30330 04C3F7FA
	v_max3_f32 v48, |v252|, |v253|, v48                        // 000000007A24: D1D30330 04C3FBFC
	v_max3_f32 v48, |v254|, |v255|, v48                        // 000000007A2C: D1D30330 04C3FFFE
	buffer_load_dwordx4 a[108:111], v37, s[20:23], 0 offen     // 000000007A34: E05C1000 80856C25
	ds_write_b32 v8, v48 offset:20992                          // 000000007A3C: D81A5200 00003008
	v_sub_f32_e32 v49, v11, v15                                // 000000007A44: 04621F0B
	v_cndmask_b32_e64 v49, v49, 0, s[40:41]                    // 000000007A48: D1000031 00A10131
	v_mov_b32_e32 v11, v15                                     // 000000007A50: 7E16030F
	v_mul_f32_e32 v49, s64, v49                                // 000000007A54: 0A626240
	v_exp_f32_e32 v49, v49                                     // 000000007A58: 7E624131
	s_waitcnt lgkmcnt(0)                                       // 000000007A5C: BF8CC07F
	s_barrier                                                  // 000000007A60: BF8A0000
	ds_read_b32 v64, v7 offset:20992                           // 000000007A64: D86C5200 40000007
	ds_read_b32 v65, v7 offset:21056                           // 000000007A6C: D86C5240 41000007
	ds_read_b32 v66, v7 offset:21120                           // 000000007A74: D86C5280 42000007
	ds_read_b32 v67, v7 offset:21184                           // 000000007A7C: D86C52C0 43000007
	ds_read_b32 v68, v7 offset:21248                           // 000000007A84: D86C5300 44000007
	ds_read_b32 v69, v7 offset:21312                           // 000000007A8C: D86C5340 45000007
	ds_read_b32 v70, v7 offset:21376                           // 000000007A94: D86C5380 46000007
	ds_read_b32 v71, v7 offset:21440                           // 000000007A9C: D86C53C0 47000007
	ds_read_b32 v72, v7 offset:21504                           // 000000007AA4: D86C5400 48000007
	ds_read_b32 v73, v7 offset:21568                           // 000000007AAC: D86C5440 49000007
	ds_read_b32 v74, v7 offset:21632                           // 000000007AB4: D86C5480 4A000007
	ds_read_b32 v75, v7 offset:21696                           // 000000007ABC: D86C54C0 4B000007
	ds_read_b32 v76, v7 offset:21760                           // 000000007AC4: D86C5500 4C000007
	ds_read_b32 v77, v7 offset:21824                           // 000000007ACC: D86C5540 4D000007
	ds_read_b32 v78, v7 offset:21888                           // 000000007AD4: D86C5580 4E000007
	ds_read_b32 v79, v7 offset:21952                           // 000000007ADC: D86C55C0 4F000007
	v_mul_f32_e32 v38, v49, v38                                // 000000007AE4: 0A4C4D31
	v_mov_b32_e32 v15, v112                                    // 000000007AE8: 7E1E0370
	v_add_f32_e32 v15, v113, v15                               // 000000007AEC: 021E1F71
	v_add_f32_e32 v15, v114, v15                               // 000000007AF0: 021E1F72
	v_add_f32_e32 v15, v115, v15                               // 000000007AF4: 021E1F73
	v_add_f32_e32 v15, v116, v15                               // 000000007AF8: 021E1F74
	v_add_f32_e32 v15, v117, v15                               // 000000007AFC: 021E1F75
	v_add_f32_e32 v15, v118, v15                               // 000000007B00: 021E1F76
	v_add_f32_e32 v15, v119, v15                               // 000000007B04: 021E1F77
	v_add_f32_e32 v15, v120, v15                               // 000000007B08: 021E1F78
	v_add_f32_e32 v15, v121, v15                               // 000000007B0C: 021E1F79
	v_add_f32_e32 v15, v122, v15                               // 000000007B10: 021E1F7A
	v_add_f32_e32 v15, v123, v15                               // 000000007B14: 021E1F7B
	v_add_f32_e32 v15, v124, v15                               // 000000007B18: 021E1F7C
	v_add_f32_e32 v15, v125, v15                               // 000000007B1C: 021E1F7D
	v_add_f32_e32 v15, v126, v15                               // 000000007B20: 021E1F7E
	v_add_f32_e32 v15, v127, v15                               // 000000007B24: 021E1F7F
	v_add_f32_e32 v38, v15, v38                                // 000000007B28: 024C4D0F
	s_waitcnt lgkmcnt(0)                                       // 000000007B2C: BF8CC07F
	v_max3_f32 v48, |v64|, |v65|, v48                          // 000000007B30: D1D30330 04C28340
	v_max3_f32 v48, |v66|, |v67|, v48                          // 000000007B38: D1D30330 04C28742
	v_max3_f32 v48, |v68|, |v69|, v48                          // 000000007B40: D1D30330 04C28B44
	v_max3_f32 v48, |v70|, |v71|, v48                          // 000000007B48: D1D30330 04C28F46
	v_max3_f32 v48, |v72|, |v73|, v48                          // 000000007B50: D1D30330 04C29348
	v_max3_f32 v48, |v74|, |v75|, v48                          // 000000007B58: D1D30330 04C2974A
	v_max3_f32 v48, |v76|, |v77|, v48                          // 000000007B60: D1D30330 04C29B4C
	v_max3_f32 v48, |v78|, |v79|, v48                          // 000000007B68: D1D30330 04C29F4E
	s_nop 2                                                    // 000000007B70: BF800002
	v_rcp_f32_e32 v48, v48                                     // 000000007B74: 7E604530
	s_nop 1                                                    // 000000007B78: BF800001
	v_mul_f32_e32 v48, 0x42fe0000, v48                         // 000000007B7C: 0A6060FF 42FE0000
	v_mul_f32_e32 v112, v48, v240                              // 000000007B84: 0AE1E130
	v_mul_f32_e32 v113, v48, v241                              // 000000007B88: 0AE3E330
	v_mul_f32_e32 v114, v48, v242                              // 000000007B8C: 0AE5E530
	v_mul_f32_e32 v115, v48, v243                              // 000000007B90: 0AE7E730
	v_mul_f32_e32 v116, v48, v244                              // 000000007B94: 0AE9E930
	v_mul_f32_e32 v117, v48, v245                              // 000000007B98: 0AEBEB30
	v_mul_f32_e32 v118, v48, v246                              // 000000007B9C: 0AEDED30
	v_mul_f32_e32 v119, v48, v247                              // 000000007BA0: 0AEFEF30
	v_mul_f32_e32 v120, v48, v248                              // 000000007BA4: 0AF1F130
	v_mul_f32_e32 v121, v48, v249                              // 000000007BA8: 0AF3F330
	v_mul_f32_e32 v122, v48, v250                              // 000000007BAC: 0AF5F530
	v_mul_f32_e32 v123, v48, v251                              // 000000007BB0: 0AF7F730
	v_mul_f32_e32 v124, v48, v252                              // 000000007BB4: 0AF9F930
	v_mul_f32_e32 v125, v48, v253                              // 000000007BB8: 0AFBFB30
	v_mul_f32_e32 v126, v48, v254                              // 000000007BBC: 0AFDFD30
	v_mul_f32_e32 v127, v48, v255                              // 000000007BC0: 0AFFFF30
	v_cvt_i32_f32_e32 v112, v112                               // 000000007BC4: 7EE01170
	v_cvt_i32_f32_e32 v113, v113                               // 000000007BC8: 7EE21171
	v_cvt_i32_f32_e32 v114, v114                               // 000000007BCC: 7EE41172
	v_cvt_i32_f32_e32 v115, v115                               // 000000007BD0: 7EE61173
	v_cvt_i32_f32_e32 v116, v116                               // 000000007BD4: 7EE81174
	v_cvt_i32_f32_e32 v117, v117                               // 000000007BD8: 7EEA1175
	v_cvt_i32_f32_e32 v118, v118                               // 000000007BDC: 7EEC1176
	v_cvt_i32_f32_e32 v119, v119                               // 000000007BE0: 7EEE1177
	v_cvt_i32_f32_e32 v120, v120                               // 000000007BE4: 7EF01178
	v_cvt_i32_f32_e32 v121, v121                               // 000000007BE8: 7EF21179
	v_cvt_i32_f32_e32 v122, v122                               // 000000007BEC: 7EF4117A
	v_cvt_i32_f32_e32 v123, v123                               // 000000007BF0: 7EF6117B
	v_cvt_i32_f32_e32 v124, v124                               // 000000007BF4: 7EF8117C
	v_cvt_i32_f32_e32 v125, v125                               // 000000007BF8: 7EFA117D
	v_cvt_i32_f32_e32 v126, v126                               // 000000007BFC: 7EFC117E
	v_cvt_i32_f32_e32 v127, v127                               // 000000007C00: 7EFE117F
	v_perm_b32 v112, v113, v112, s53                           // 000000007C04: D1ED0070 00D6E171
	v_perm_b32 v112, v114, v112, s54                           // 000000007C0C: D1ED0070 00DAE172
	v_perm_b32 v112, v115, v112, s55                           // 000000007C14: D1ED0070 00DEE173
	v_perm_b32 v113, v117, v116, s53                           // 000000007C1C: D1ED0071 00D6E975
	v_perm_b32 v113, v118, v113, s54                           // 000000007C24: D1ED0071 00DAE376
	v_perm_b32 v113, v119, v113, s55                           // 000000007C2C: D1ED0071 00DEE377
	v_perm_b32 v114, v121, v120, s53                           // 000000007C34: D1ED0072 00D6F179
	v_perm_b32 v114, v122, v114, s54                           // 000000007C3C: D1ED0072 00DAE57A
	v_perm_b32 v114, v123, v114, s55                           // 000000007C44: D1ED0072 00DEE57B
	v_perm_b32 v115, v125, v124, s53                           // 000000007C4C: D1ED0073 00D6F97D
	v_perm_b32 v115, v126, v115, s54                           // 000000007C54: D1ED0073 00DAE77E
	v_perm_b32 v115, v127, v115, s55                           // 000000007C5C: D1ED0073 00DEE77F
	ds_write_b32 v10, v112 offset:25088                        // 000000007C64: D81A6200 0000700A
	ds_write_b32 v10, v113 offset:26112                        // 000000007C6C: D81A6600 0000710A
	ds_write_b32 v10, v114 offset:27136                        // 000000007C74: D81A6A00 0000720A
	ds_write_b32 v10, v115 offset:28160                        // 000000007C7C: D81A6E00 0000730A
	v_add_f32_e32 v208, v208, v176                             // 000000007C84: 03A161D0
	v_add_f32_e32 v209, v209, v177                             // 000000007C88: 03A363D1
	v_add_f32_e32 v210, v210, v178                             // 000000007C8C: 03A565D2
	v_add_f32_e32 v211, v211, v179                             // 000000007C90: 03A767D3
	v_add_f32_e32 v212, v212, v180                             // 000000007C94: 03A969D4
	v_add_f32_e32 v213, v213, v181                             // 000000007C98: 03AB6BD5
	v_add_f32_e32 v214, v214, v182                             // 000000007C9C: 03AD6DD6
	v_add_f32_e32 v215, v215, v183                             // 000000007CA0: 03AF6FD7
	v_rcp_f32_e32 v44, v48                                     // 000000007CA4: 7E584530
	s_waitcnt lgkmcnt(0)                                       // 000000007CA8: BF8CC07F
	s_barrier                                                  // 000000007CAC: BF8A0000
	ds_read_b64 v[112:113], v9 offset:25088                    // 000000007CB0: D8EC6200 70000009
	ds_read_b64 v[114:115], v9 offset:25216                    // 000000007CB8: D8EC6280 72000009
	ds_read_b64 v[116:117], v9 offset:26112                    // 000000007CC0: D8EC6600 74000009
	ds_read_b64 v[118:119], v9 offset:26240                    // 000000007CC8: D8EC6680 76000009
	ds_read_b64 v[120:121], v9 offset:27136                    // 000000007CD0: D8EC6A00 78000009
	ds_read_b64 v[122:123], v9 offset:27264                    // 000000007CD8: D8EC6A80 7A000009
	ds_read_b64 v[124:125], v9 offset:28160                    // 000000007CE0: D8EC6E00 7C000009
	ds_read_b64 v[126:127], v9 offset:28288                    // 000000007CE8: D8EC6E80 7E000009
	v_mov_b32_dpp v64, v42 row_shr:4 row_mask:0xf bank_mask:0xf// 000000007CF0: 7E8002FA FF01142A
	v_mov_b32_dpp v65, v42 row_shl:4 row_mask:0xf bank_mask:0xf// 000000007CF8: 7E8202FA FF01042A
	v_cndmask_b32_e64 v248, v42, v64, s[44:45]                 // 000000007D00: D10000F8 00B2812A
	v_cndmask_b32_e64 v249, v65, v42, s[44:45]                 // 000000007D08: D10000F9 00B25541
	v_mov_b32_dpp v64, v248 row_shr:8 row_mask:0xf bank_mask:0xf// 000000007D10: 7E8002FA FF0118F8
	v_mov_b32_dpp v65, v248 row_shl:8 row_mask:0xf bank_mask:0xf// 000000007D18: 7E8202FA FF0108F8
	v_mov_b32_dpp v66, v249 row_shr:8 row_mask:0xf bank_mask:0xf// 000000007D20: 7E8402FA FF0118F9
	v_mov_b32_dpp v67, v249 row_shl:8 row_mask:0xf bank_mask:0xf// 000000007D28: 7E8602FA FF0108F9
	v_mov_b32_e32 v68, v248                                    // 000000007D30: 7E8803F8
	v_mov_b32_e32 v69, v249                                    // 000000007D34: 7E8A03F9
	v_cndmask_b32_e64 v248, v68, v64, s[42:43]                 // 000000007D38: D10000F8 00AA8144
	v_cndmask_b32_e64 v250, v68, v65, s[78:79]                 // 000000007D40: D10000FA 013A8344
	v_cndmask_b32_e64 v249, v69, v66, s[42:43]                 // 000000007D48: D10000F9 00AA8545
	v_cndmask_b32_e64 v251, v69, v67, s[78:79]                 // 000000007D50: D10000FB 013A8745
	v_mov_b32_dpp v64, v57 row_shr:4 row_mask:0xf bank_mask:0xf// 000000007D58: 7E8002FA FF011439
	v_mov_b32_dpp v65, v57 row_shl:4 row_mask:0xf bank_mask:0xf// 000000007D60: 7E8202FA FF010439
	v_cndmask_b32_e64 v252, v57, v64, s[44:45]                 // 000000007D68: D10000FC 00B28139
	v_cndmask_b32_e64 v253, v65, v57, s[44:45]                 // 000000007D70: D10000FD 00B27341
	v_mov_b32_dpp v64, v252 row_shr:8 row_mask:0xf bank_mask:0xf// 000000007D78: 7E8002FA FF0118FC
	v_mov_b32_dpp v65, v252 row_shl:8 row_mask:0xf bank_mask:0xf// 000000007D80: 7E8202FA FF0108FC
	v_mov_b32_dpp v66, v253 row_shr:8 row_mask:0xf bank_mask:0xf// 000000007D88: 7E8402FA FF0118FD
	v_mov_b32_dpp v67, v253 row_shl:8 row_mask:0xf bank_mask:0xf// 000000007D90: 7E8602FA FF0108FD
	v_mov_b32_e32 v68, v252                                    // 000000007D98: 7E8803FC
	v_mov_b32_e32 v69, v253                                    // 000000007D9C: 7E8A03FD
	v_cndmask_b32_e64 v252, v68, v64, s[42:43]                 // 000000007DA0: D10000FC 00AA8144
	v_cndmask_b32_e64 v254, v68, v65, s[78:79]                 // 000000007DA8: D10000FE 013A8344
	v_cndmask_b32_e64 v253, v69, v66, s[42:43]                 // 000000007DB0: D10000FD 00AA8545
	v_cndmask_b32_e64 v255, v69, v67, s[78:79]                 // 000000007DB8: D10000FF 013A8745
	v_cvt_f32_i32_e32 v128, v128                               // 000000007DC0: 7F000B80
	v_cvt_f32_i32_e32 v129, v129                               // 000000007DC4: 7F020B81
	v_cvt_f32_i32_e32 v130, v130                               // 000000007DC8: 7F040B82
	v_cvt_f32_i32_e32 v131, v131                               // 000000007DCC: 7F060B83
	v_cvt_f32_i32_e32 v132, v132                               // 000000007DD0: 7F080B84
	v_cvt_f32_i32_e32 v133, v133                               // 000000007DD4: 7F0A0B85
	v_cvt_f32_i32_e32 v134, v134                               // 000000007DD8: 7F0C0B86
	v_cvt_f32_i32_e32 v135, v135                               // 000000007DDC: 7F0E0B87
	v_cvt_f32_i32_e32 v136, v136                               // 000000007DE0: 7F100B88
	v_cvt_f32_i32_e32 v137, v137                               // 000000007DE4: 7F120B89
	v_cvt_f32_i32_e32 v138, v138                               // 000000007DE8: 7F140B8A
	v_cvt_f32_i32_e32 v139, v139                               // 000000007DEC: 7F160B8B
	v_cvt_f32_i32_e32 v140, v140                               // 000000007DF0: 7F180B8C
	v_cvt_f32_i32_e32 v141, v141                               // 000000007DF4: 7F1A0B8D
	v_cvt_f32_i32_e32 v142, v142                               // 000000007DF8: 7F1C0B8E
	v_cvt_f32_i32_e32 v143, v143                               // 000000007DFC: 7F1E0B8F
	v_mul_f32_e32 v128, v19, v128                              // 000000007E00: 0B010113
	v_mul_f32_e32 v129, v19, v129                              // 000000007E04: 0B030313
	v_mul_f32_e32 v130, v19, v130                              // 000000007E08: 0B050513
	v_mul_f32_e32 v131, v19, v131                              // 000000007E0C: 0B070713
	v_mul_f32_e32 v132, v19, v132                              // 000000007E10: 0B090913
	v_mul_f32_e32 v133, v19, v133                              // 000000007E14: 0B0B0B13
	v_mul_f32_e32 v134, v19, v134                              // 000000007E18: 0B0D0D13
	v_mul_f32_e32 v135, v19, v135                              // 000000007E1C: 0B0F0F13
	v_mul_f32_e32 v136, v19, v136                              // 000000007E20: 0B111113
	v_mul_f32_e32 v137, v19, v137                              // 000000007E24: 0B131313
	v_mul_f32_e32 v138, v19, v138                              // 000000007E28: 0B151513
	v_mul_f32_e32 v139, v19, v139                              // 000000007E2C: 0B171713
	v_mul_f32_e32 v140, v19, v140                              // 000000007E30: 0B191913
	v_mul_f32_e32 v141, v19, v141                              // 000000007E34: 0B1B1B13
	v_mul_f32_e32 v142, v19, v142                              // 000000007E38: 0B1D1D13
	v_mul_f32_e32 v143, v19, v143                              // 000000007E3C: 0B1F1F13
	v_mul_f32_dpp v128, v248, v128 quad_perm:[0,0,0,0] row_mask:0xf bank_mask:0xf// 000000007E40: 0B0100FA FF0000F8
	v_mul_f32_dpp v129, v248, v129 quad_perm:[1,1,1,1] row_mask:0xf bank_mask:0xf// 000000007E48: 0B0302FA FF0055F8
	v_mul_f32_dpp v130, v248, v130 quad_perm:[2,2,2,2] row_mask:0xf bank_mask:0xf// 000000007E50: 0B0504FA FF00AAF8
	v_mul_f32_dpp v131, v248, v131 quad_perm:[3,3,3,3] row_mask:0xf bank_mask:0xf// 000000007E58: 0B0706FA FF00FFF8
	v_mul_f32_dpp v132, v249, v132 quad_perm:[0,0,0,0] row_mask:0xf bank_mask:0xf// 000000007E60: 0B0908FA FF0000F9
	v_mul_f32_dpp v133, v249, v133 quad_perm:[1,1,1,1] row_mask:0xf bank_mask:0xf// 000000007E68: 0B0B0AFA FF0055F9
	v_mul_f32_dpp v134, v249, v134 quad_perm:[2,2,2,2] row_mask:0xf bank_mask:0xf// 000000007E70: 0B0D0CFA FF00AAF9
	v_mul_f32_dpp v135, v249, v135 quad_perm:[3,3,3,3] row_mask:0xf bank_mask:0xf// 000000007E78: 0B0F0EFA FF00FFF9
	v_mul_f32_dpp v136, v250, v136 quad_perm:[0,0,0,0] row_mask:0xf bank_mask:0xf// 000000007E80: 0B1110FA FF0000FA
	v_mul_f32_dpp v137, v250, v137 quad_perm:[1,1,1,1] row_mask:0xf bank_mask:0xf// 000000007E88: 0B1312FA FF0055FA
	v_mul_f32_dpp v138, v250, v138 quad_perm:[2,2,2,2] row_mask:0xf bank_mask:0xf// 000000007E90: 0B1514FA FF00AAFA
	v_mul_f32_dpp v139, v250, v139 quad_perm:[3,3,3,3] row_mask:0xf bank_mask:0xf// 000000007E98: 0B1716FA FF00FFFA
	v_mul_f32_dpp v140, v251, v140 quad_perm:[0,0,0,0] row_mask:0xf bank_mask:0xf// 000000007EA0: 0B1918FA FF0000FB
	v_mul_f32_dpp v141, v251, v141 quad_perm:[1,1,1,1] row_mask:0xf bank_mask:0xf// 000000007EA8: 0B1B1AFA FF0055FB
	v_mul_f32_dpp v142, v251, v142 quad_perm:[2,2,2,2] row_mask:0xf bank_mask:0xf// 000000007EB0: 0B1D1CFA FF00AAFB
	v_mul_f32_dpp v143, v251, v143 quad_perm:[3,3,3,3] row_mask:0xf bank_mask:0xf// 000000007EB8: 0B1F1EFA FF00FFFB
	v_mov_b32_e32 v48, v128                                    // 000000007EC0: 7E600380
	v_max3_f32 v48, v128, v129, v48                            // 000000007EC4: D1D30030 04C30380
	v_max3_f32 v48, v130, v131, v48                            // 000000007ECC: D1D30030 04C30782
	v_max3_f32 v48, v132, v133, v48                            // 000000007ED4: D1D30030 04C30B84
	v_max3_f32 v48, v134, v135, v48                            // 000000007EDC: D1D30030 04C30F86
	v_max3_f32 v48, v136, v137, v48                            // 000000007EE4: D1D30030 04C31388
	v_max3_f32 v48, v138, v139, v48                            // 000000007EEC: D1D30030 04C3178A
	v_max3_f32 v48, v140, v141, v48                            // 000000007EF4: D1D30030 04C31B8C
	v_max3_f32 v48, v142, v143, v48                            // 000000007EFC: D1D30030 04C31F8E
	ds_write_b32 v8, v48 offset:16896                          // 000000007F04: D81A4200 00003008
	v_mul_f32_e32 v216, v50, v216                              // 000000007F0C: 0BB1B132
	v_mul_f32_e32 v217, v50, v217                              // 000000007F10: 0BB3B332
	v_mul_f32_e32 v218, v50, v218                              // 000000007F14: 0BB5B532
	v_mul_f32_e32 v219, v50, v219                              // 000000007F18: 0BB7B732
	v_mul_f32_e32 v220, v50, v220                              // 000000007F1C: 0BB9B932
	v_mul_f32_e32 v221, v50, v221                              // 000000007F20: 0BBBBB32
	v_mul_f32_e32 v222, v50, v222                              // 000000007F24: 0BBDBD32
	v_mul_f32_e32 v223, v50, v223                              // 000000007F28: 0BBFBF32
	s_waitcnt lgkmcnt(0)                                       // 000000007F2C: BF8CC07F
	s_barrier                                                  // 000000007F30: BF8A0000
	ds_read_b32 v64, v7 offset:16896                           // 000000007F34: D86C4200 40000007
	ds_read_b32 v65, v7 offset:16960                           // 000000007F3C: D86C4240 41000007
	ds_read_b32 v66, v7 offset:17024                           // 000000007F44: D86C4280 42000007
	ds_read_b32 v67, v7 offset:17088                           // 000000007F4C: D86C42C0 43000007
	ds_read_b32 v68, v7 offset:17152                           // 000000007F54: D86C4300 44000007
	ds_read_b32 v69, v7 offset:17216                           // 000000007F5C: D86C4340 45000007
	ds_read_b32 v70, v7 offset:17280                           // 000000007F64: D86C4380 46000007
	ds_read_b32 v71, v7 offset:17344                           // 000000007F6C: D86C43C0 47000007
	ds_read_b32 v72, v7 offset:17408                           // 000000007F74: D86C4400 48000007
	ds_read_b32 v73, v7 offset:17472                           // 000000007F7C: D86C4440 49000007
	ds_read_b32 v74, v7 offset:17536                           // 000000007F84: D86C4480 4A000007
	ds_read_b32 v75, v7 offset:17600                           // 000000007F8C: D86C44C0 4B000007
	ds_read_b32 v76, v7 offset:17664                           // 000000007F94: D86C4500 4C000007
	ds_read_b32 v77, v7 offset:17728                           // 000000007F9C: D86C4540 4D000007
	ds_read_b32 v78, v7 offset:17792                           // 000000007FA4: D86C4580 4E000007
	ds_read_b32 v79, v7 offset:17856                           // 000000007FAC: D86C45C0 4F000007
	v_cvt_f32_i32_e32 v184, v184                               // 000000007FB4: 7F700BB8
	v_cvt_f32_i32_e32 v185, v185                               // 000000007FB8: 7F720BB9
	v_cvt_f32_i32_e32 v186, v186                               // 000000007FBC: 7F740BBA
	v_cvt_f32_i32_e32 v187, v187                               // 000000007FC0: 7F760BBB
	v_cvt_f32_i32_e32 v188, v188                               // 000000007FC4: 7F780BBC
	v_cvt_f32_i32_e32 v189, v189                               // 000000007FC8: 7F7A0BBD
	v_cvt_f32_i32_e32 v190, v190                               // 000000007FCC: 7F7C0BBE
	v_cvt_f32_i32_e32 v191, v191                               // 000000007FD0: 7F7E0BBF
	v_mul_f32_e32 v184, v45, v184                              // 000000007FD4: 0B71712D
	v_mul_f32_e32 v185, v45, v185                              // 000000007FD8: 0B73732D
	v_mul_f32_e32 v186, v45, v186                              // 000000007FDC: 0B75752D
	v_mul_f32_e32 v187, v45, v187                              // 000000007FE0: 0B77772D
	v_mul_f32_e32 v188, v45, v188                              // 000000007FE4: 0B79792D
	v_mul_f32_e32 v189, v45, v189                              // 000000007FE8: 0B7B7B2D
	v_mul_f32_e32 v190, v45, v190                              // 000000007FEC: 0B7D7D2D
	v_mul_f32_e32 v191, v45, v191                              // 000000007FF0: 0B7F7F2D
	s_waitcnt lgkmcnt(0)                                       // 000000007FF4: BF8CC07F
	v_max3_f32 v48, v64, v65, v48                              // 000000007FF8: D1D30030 04C28340
	v_max3_f32 v48, v66, v67, v48                              // 000000008000: D1D30030 04C28742
	v_max3_f32 v48, v68, v69, v48                              // 000000008008: D1D30030 04C28B44
	v_max3_f32 v48, v70, v71, v48                              // 000000008010: D1D30030 04C28F46
	v_max3_f32 v48, v72, v73, v48                              // 000000008018: D1D30030 04C29348
	v_max3_f32 v48, v74, v75, v48                              // 000000008020: D1D30030 04C2974A
	v_max3_f32 v48, v76, v77, v48                              // 000000008028: D1D30030 04C29B4C
	v_max3_f32 v48, v78, v79, v48                              // 000000008030: D1D30030 04C29F4E
	v_mov_b32_e32 v64, 0xff800000                              // 000000008038: 7E8002FF FF800000
	v_cmp_eq_u32_e64 s[40:41], v64, v12                        // 000000008040: D0CA0028 00021940
	s_nop 1                                                    // 000000008048: BF800001
	v_max_f32_e32 v15, v48, v12                                // 00000000804C: 161E1930
	v_mul_f32_e32 v53, s64, v15                                // 000000008050: 0A6A1E40
	v_fma_f32 v128, v128, s64, -v53                            // 000000008054: D1CB0080 84D48180
	v_fma_f32 v129, v129, s64, -v53                            // 00000000805C: D1CB0081 84D48181
	v_fma_f32 v130, v130, s64, -v53                            // 000000008064: D1CB0082 84D48182
	v_fma_f32 v131, v131, s64, -v53                            // 00000000806C: D1CB0083 84D48183
	v_fma_f32 v132, v132, s64, -v53                            // 000000008074: D1CB0084 84D48184
	v_fma_f32 v133, v133, s64, -v53                            // 00000000807C: D1CB0085 84D48185
	v_fma_f32 v134, v134, s64, -v53                            // 000000008084: D1CB0086 84D48186
	v_fma_f32 v135, v135, s64, -v53                            // 00000000808C: D1CB0087 84D48187
	v_fma_f32 v136, v136, s64, -v53                            // 000000008094: D1CB0088 84D48188
	v_fma_f32 v137, v137, s64, -v53                            // 00000000809C: D1CB0089 84D48189
	v_fma_f32 v138, v138, s64, -v53                            // 0000000080A4: D1CB008A 84D4818A
	v_fma_f32 v139, v139, s64, -v53                            // 0000000080AC: D1CB008B 84D4818B
	v_fma_f32 v140, v140, s64, -v53                            // 0000000080B4: D1CB008C 84D4818C
	v_fma_f32 v141, v141, s64, -v53                            // 0000000080BC: D1CB008D 84D4818D
	v_fma_f32 v142, v142, s64, -v53                            // 0000000080C4: D1CB008E 84D4818E
	v_fma_f32 v143, v143, s64, -v53                            // 0000000080CC: D1CB008F 84D4818F
	v_exp_f32_e32 v128, v128                                   // 0000000080D4: 7F004180
	v_exp_f32_e32 v129, v129                                   // 0000000080D8: 7F024181
	v_exp_f32_e32 v130, v130                                   // 0000000080DC: 7F044182
	v_exp_f32_e32 v131, v131                                   // 0000000080E0: 7F064183
	v_exp_f32_e32 v132, v132                                   // 0000000080E4: 7F084184
	v_exp_f32_e32 v133, v133                                   // 0000000080E8: 7F0A4185
	v_exp_f32_e32 v134, v134                                   // 0000000080EC: 7F0C4186
	v_exp_f32_e32 v135, v135                                   // 0000000080F0: 7F0E4187
	v_exp_f32_e32 v136, v136                                   // 0000000080F4: 7F104188
	v_exp_f32_e32 v137, v137                                   // 0000000080F8: 7F124189
	v_exp_f32_e32 v138, v138                                   // 0000000080FC: 7F14418A
	v_exp_f32_e32 v139, v139                                   // 000000008100: 7F16418B
	v_exp_f32_e32 v140, v140                                   // 000000008104: 7F18418C
	v_exp_f32_e32 v141, v141                                   // 000000008108: 7F1A418D
	v_exp_f32_e32 v142, v142                                   // 00000000810C: 7F1C418E
	v_exp_f32_e32 v143, v143                                   // 000000008110: 7F1E418F
	v_mul_f32_dpp v240, v252, v128 quad_perm:[0,0,0,0] row_mask:0xf bank_mask:0xf// 000000008114: 0BE100FA FF0000FC
	v_mul_f32_dpp v241, v252, v129 quad_perm:[1,1,1,1] row_mask:0xf bank_mask:0xf// 00000000811C: 0BE302FA FF0055FC
	v_mul_f32_dpp v242, v252, v130 quad_perm:[2,2,2,2] row_mask:0xf bank_mask:0xf// 000000008124: 0BE504FA FF00AAFC
	v_mul_f32_dpp v243, v252, v131 quad_perm:[3,3,3,3] row_mask:0xf bank_mask:0xf// 00000000812C: 0BE706FA FF00FFFC
	v_mul_f32_dpp v244, v253, v132 quad_perm:[0,0,0,0] row_mask:0xf bank_mask:0xf// 000000008134: 0BE908FA FF0000FD
	v_mul_f32_dpp v245, v253, v133 quad_perm:[1,1,1,1] row_mask:0xf bank_mask:0xf// 00000000813C: 0BEB0AFA FF0055FD
	v_mul_f32_dpp v246, v253, v134 quad_perm:[2,2,2,2] row_mask:0xf bank_mask:0xf// 000000008144: 0BED0CFA FF00AAFD
	v_mul_f32_dpp v247, v253, v135 quad_perm:[3,3,3,3] row_mask:0xf bank_mask:0xf// 00000000814C: 0BEF0EFA FF00FFFD
	v_mul_f32_dpp v248, v254, v136 quad_perm:[0,0,0,0] row_mask:0xf bank_mask:0xf// 000000008154: 0BF110FA FF0000FE
	v_mul_f32_dpp v249, v254, v137 quad_perm:[1,1,1,1] row_mask:0xf bank_mask:0xf// 00000000815C: 0BF312FA FF0055FE
	v_mul_f32_dpp v250, v254, v138 quad_perm:[2,2,2,2] row_mask:0xf bank_mask:0xf// 000000008164: 0BF514FA FF00AAFE
	v_mul_f32_dpp v251, v254, v139 quad_perm:[3,3,3,3] row_mask:0xf bank_mask:0xf// 00000000816C: 0BF716FA FF00FFFE
	v_mul_f32_dpp v252, v255, v140 quad_perm:[0,0,0,0] row_mask:0xf bank_mask:0xf// 000000008174: 0BF918FA FF0000FF
	v_mul_f32_dpp v253, v255, v141 quad_perm:[1,1,1,1] row_mask:0xf bank_mask:0xf// 00000000817C: 0BFB1AFA FF0055FF
	v_mul_f32_dpp v254, v255, v142 quad_perm:[2,2,2,2] row_mask:0xf bank_mask:0xf// 000000008184: 0BFD1CFA FF00AAFF
	v_mul_f32_dpp v255, v255, v143 quad_perm:[3,3,3,3] row_mask:0xf bank_mask:0xf// 00000000818C: 0BFF1EFA FF00FFFF
	v_mov_b32_e32 v48, 0x358637bd                              // 000000008194: 7E6002FF 358637BD
	v_max3_f32 v48, |v240|, |v241|, v48                        // 00000000819C: D1D30330 04C3E3F0
	v_max3_f32 v48, |v242|, |v243|, v48                        // 0000000081A4: D1D30330 04C3E7F2
	v_max3_f32 v48, |v244|, |v245|, v48                        // 0000000081AC: D1D30330 04C3EBF4
	v_max3_f32 v48, |v246|, |v247|, v48                        // 0000000081B4: D1D30330 04C3EFF6
	v_max3_f32 v48, |v248|, |v249|, v48                        // 0000000081BC: D1D30330 04C3F3F8
	v_max3_f32 v48, |v250|, |v251|, v48                        // 0000000081C4: D1D30330 04C3F7FA
	v_max3_f32 v48, |v252|, |v253|, v48                        // 0000000081CC: D1D30330 04C3FBFC
	v_max3_f32 v48, |v254|, |v255|, v48                        // 0000000081D4: D1D30330 04C3FFFE
	ds_write_b32 v8, v48 offset:20992                          // 0000000081DC: D81A5200 00003008
	v_sub_f32_e32 v50, v12, v15                                // 0000000081E4: 04641F0C
	v_cndmask_b32_e64 v50, v50, 0, s[40:41]                    // 0000000081E8: D1000032 00A10132
	v_mov_b32_e32 v12, v15                                     // 0000000081F0: 7E18030F
	v_mul_f32_e32 v50, s64, v50                                // 0000000081F4: 0A646440
	v_exp_f32_e32 v50, v50                                     // 0000000081F8: 7E644132
	s_waitcnt lgkmcnt(0)                                       // 0000000081FC: BF8CC07F
	s_barrier                                                  // 000000008200: BF8A0000
	ds_read_b32 v64, v7 offset:20992                           // 000000008204: D86C5200 40000007
	ds_read_b32 v65, v7 offset:21056                           // 00000000820C: D86C5240 41000007
	ds_read_b32 v66, v7 offset:21120                           // 000000008214: D86C5280 42000007
	ds_read_b32 v67, v7 offset:21184                           // 00000000821C: D86C52C0 43000007
	ds_read_b32 v68, v7 offset:21248                           // 000000008224: D86C5300 44000007
	ds_read_b32 v69, v7 offset:21312                           // 00000000822C: D86C5340 45000007
	ds_read_b32 v70, v7 offset:21376                           // 000000008234: D86C5380 46000007
	ds_read_b32 v71, v7 offset:21440                           // 00000000823C: D86C53C0 47000007
	ds_read_b32 v72, v7 offset:21504                           // 000000008244: D86C5400 48000007
	ds_read_b32 v73, v7 offset:21568                           // 00000000824C: D86C5440 49000007
	ds_read_b32 v74, v7 offset:21632                           // 000000008254: D86C5480 4A000007
	ds_read_b32 v75, v7 offset:21696                           // 00000000825C: D86C54C0 4B000007
	ds_read_b32 v76, v7 offset:21760                           // 000000008264: D86C5500 4C000007
	ds_read_b32 v77, v7 offset:21824                           // 00000000826C: D86C5540 4D000007
	ds_read_b32 v78, v7 offset:21888                           // 000000008274: D86C5580 4E000007
	ds_read_b32 v79, v7 offset:21952                           // 00000000827C: D86C55C0 4F000007
	v_mul_f32_e32 v39, v50, v39                                // 000000008284: 0A4E4F32
	v_mov_b32_e32 v15, v128                                    // 000000008288: 7E1E0380
	v_add_f32_e32 v15, v129, v15                               // 00000000828C: 021E1F81
	v_add_f32_e32 v15, v130, v15                               // 000000008290: 021E1F82
	v_add_f32_e32 v15, v131, v15                               // 000000008294: 021E1F83
	v_add_f32_e32 v15, v132, v15                               // 000000008298: 021E1F84
	v_add_f32_e32 v15, v133, v15                               // 00000000829C: 021E1F85
	v_add_f32_e32 v15, v134, v15                               // 0000000082A0: 021E1F86
	v_add_f32_e32 v15, v135, v15                               // 0000000082A4: 021E1F87
	v_add_f32_e32 v15, v136, v15                               // 0000000082A8: 021E1F88
	v_add_f32_e32 v15, v137, v15                               // 0000000082AC: 021E1F89
	v_add_f32_e32 v15, v138, v15                               // 0000000082B0: 021E1F8A
	v_add_f32_e32 v15, v139, v15                               // 0000000082B4: 021E1F8B
	v_add_f32_e32 v15, v140, v15                               // 0000000082B8: 021E1F8C
	v_add_f32_e32 v15, v141, v15                               // 0000000082BC: 021E1F8D
	v_add_f32_e32 v15, v142, v15                               // 0000000082C0: 021E1F8E
	v_add_f32_e32 v15, v143, v15                               // 0000000082C4: 021E1F8F
	v_add_f32_e32 v39, v15, v39                                // 0000000082C8: 024E4F0F
	s_waitcnt lgkmcnt(0)                                       // 0000000082CC: BF8CC07F
	v_max3_f32 v48, |v64|, |v65|, v48                          // 0000000082D0: D1D30330 04C28340
	v_max3_f32 v48, |v66|, |v67|, v48                          // 0000000082D8: D1D30330 04C28742
	v_max3_f32 v48, |v68|, |v69|, v48                          // 0000000082E0: D1D30330 04C28B44
	v_max3_f32 v48, |v70|, |v71|, v48                          // 0000000082E8: D1D30330 04C28F46
	v_max3_f32 v48, |v72|, |v73|, v48                          // 0000000082F0: D1D30330 04C29348
	v_max3_f32 v48, |v74|, |v75|, v48                          // 0000000082F8: D1D30330 04C2974A
	v_max3_f32 v48, |v76|, |v77|, v48                          // 000000008300: D1D30330 04C29B4C
	v_max3_f32 v48, |v78|, |v79|, v48                          // 000000008308: D1D30330 04C29F4E
	s_nop 2                                                    // 000000008310: BF800002
	v_rcp_f32_e32 v48, v48                                     // 000000008314: 7E604530
	s_nop 1                                                    // 000000008318: BF800001
	v_mul_f32_e32 v48, 0x42fe0000, v48                         // 00000000831C: 0A6060FF 42FE0000
	v_mul_f32_e32 v128, v48, v240                              // 000000008324: 0B01E130
	v_mul_f32_e32 v129, v48, v241                              // 000000008328: 0B03E330
	v_mul_f32_e32 v130, v48, v242                              // 00000000832C: 0B05E530
	v_mul_f32_e32 v131, v48, v243                              // 000000008330: 0B07E730
	v_mul_f32_e32 v132, v48, v244                              // 000000008334: 0B09E930
	v_mul_f32_e32 v133, v48, v245                              // 000000008338: 0B0BEB30
	v_mul_f32_e32 v134, v48, v246                              // 00000000833C: 0B0DED30
	v_mul_f32_e32 v135, v48, v247                              // 000000008340: 0B0FEF30
	v_mul_f32_e32 v136, v48, v248                              // 000000008344: 0B11F130
	v_mul_f32_e32 v137, v48, v249                              // 000000008348: 0B13F330
	v_mul_f32_e32 v138, v48, v250                              // 00000000834C: 0B15F530
	v_mul_f32_e32 v139, v48, v251                              // 000000008350: 0B17F730
	v_mul_f32_e32 v140, v48, v252                              // 000000008354: 0B19F930
	v_mul_f32_e32 v141, v48, v253                              // 000000008358: 0B1BFB30
	v_mul_f32_e32 v142, v48, v254                              // 00000000835C: 0B1DFD30
	v_mul_f32_e32 v143, v48, v255                              // 000000008360: 0B1FFF30
	v_cvt_i32_f32_e32 v128, v128                               // 000000008364: 7F001180
	v_cvt_i32_f32_e32 v129, v129                               // 000000008368: 7F021181
	v_cvt_i32_f32_e32 v130, v130                               // 00000000836C: 7F041182
	v_cvt_i32_f32_e32 v131, v131                               // 000000008370: 7F061183
	v_cvt_i32_f32_e32 v132, v132                               // 000000008374: 7F081184
	v_cvt_i32_f32_e32 v133, v133                               // 000000008378: 7F0A1185
	v_cvt_i32_f32_e32 v134, v134                               // 00000000837C: 7F0C1186
	v_cvt_i32_f32_e32 v135, v135                               // 000000008380: 7F0E1187
	v_cvt_i32_f32_e32 v136, v136                               // 000000008384: 7F101188
	v_cvt_i32_f32_e32 v137, v137                               // 000000008388: 7F121189
	v_cvt_i32_f32_e32 v138, v138                               // 00000000838C: 7F14118A
	v_cvt_i32_f32_e32 v139, v139                               // 000000008390: 7F16118B
	v_cvt_i32_f32_e32 v140, v140                               // 000000008394: 7F18118C
	v_cvt_i32_f32_e32 v141, v141                               // 000000008398: 7F1A118D
	v_cvt_i32_f32_e32 v142, v142                               // 00000000839C: 7F1C118E
	v_cvt_i32_f32_e32 v143, v143                               // 0000000083A0: 7F1E118F
	v_perm_b32 v128, v129, v128, s53                           // 0000000083A4: D1ED0080 00D70181
	v_perm_b32 v128, v130, v128, s54                           // 0000000083AC: D1ED0080 00DB0182
	v_perm_b32 v128, v131, v128, s55                           // 0000000083B4: D1ED0080 00DF0183
	v_perm_b32 v129, v133, v132, s53                           // 0000000083BC: D1ED0081 00D70985
	v_perm_b32 v129, v134, v129, s54                           // 0000000083C4: D1ED0081 00DB0386
	v_perm_b32 v129, v135, v129, s55                           // 0000000083CC: D1ED0081 00DF0387
	v_perm_b32 v130, v137, v136, s53                           // 0000000083D4: D1ED0082 00D71189
	v_perm_b32 v130, v138, v130, s54                           // 0000000083DC: D1ED0082 00DB058A
	v_perm_b32 v130, v139, v130, s55                           // 0000000083E4: D1ED0082 00DF058B
	v_perm_b32 v131, v141, v140, s53                           // 0000000083EC: D1ED0083 00D7198D
	v_perm_b32 v131, v142, v131, s54                           // 0000000083F4: D1ED0083 00DB078E
	v_perm_b32 v131, v143, v131, s55                           // 0000000083FC: D1ED0083 00DF078F
	ds_write_b32 v10, v128 offset:29184                        // 000000008404: D81A7200 0000800A
	ds_write_b32 v10, v129 offset:30208                        // 00000000840C: D81A7600 0000810A
	ds_write_b32 v10, v130 offset:31232                        // 000000008414: D81A7A00 0000820A
	ds_write_b32 v10, v131 offset:32256                        // 00000000841C: D81A7E00 0000830A
	v_add_f32_e32 v216, v216, v184                             // 000000008424: 03B171D8
	v_add_f32_e32 v217, v217, v185                             // 000000008428: 03B373D9
	v_add_f32_e32 v218, v218, v186                             // 00000000842C: 03B575DA
	v_add_f32_e32 v219, v219, v187                             // 000000008430: 03B777DB
	v_add_f32_e32 v220, v220, v188                             // 000000008434: 03B979DC
	v_add_f32_e32 v221, v221, v189                             // 000000008438: 03BB7BDD
	v_add_f32_e32 v222, v222, v190                             // 00000000843C: 03BD7DDE
	v_add_f32_e32 v223, v223, v191                             // 000000008440: 03BF7FDF
	v_rcp_f32_e32 v45, v48                                     // 000000008444: 7E5A4530
	s_waitcnt lgkmcnt(0)                                       // 000000008448: BF8CC07F
	s_barrier                                                  // 00000000844C: BF8A0000
	ds_read_b64 v[128:129], v9 offset:29184                    // 000000008450: D8EC7200 80000009
	ds_read_b64 v[130:131], v9 offset:29312                    // 000000008458: D8EC7280 82000009
	ds_read_b64 v[132:133], v9 offset:30208                    // 000000008460: D8EC7600 84000009
	ds_read_b64 v[134:135], v9 offset:30336                    // 000000008468: D8EC7680 86000009
	ds_read_b64 v[136:137], v9 offset:31232                    // 000000008470: D8EC7A00 88000009
	ds_read_b64 v[138:139], v9 offset:31360                    // 000000008478: D8EC7A80 8A000009
	ds_read_b64 v[140:141], v9 offset:32256                    // 000000008480: D8EC7E00 8C000009
	ds_read_b64 v[142:143], v9 offset:32384                    // 000000008488: D8EC7E80 8E000009
	s_waitcnt vmcnt(15)                                        // 000000008490: BF8C0F7F
	v_mfma_i32_16x16x32_i8 v[176:179], a[64:65], v[112:113], 0 // 000000008494: D3D700B0 0A02E140
	v_mfma_i32_16x16x32_i8 v[176:179], a[66:67], v[114:115], v[176:179]// 00000000849C: D3D700B0 0EC2E542
	buffer_load_dwordx4 a[112:115], v34, s[20:23], 0 offen offset:1024// 0000000084A4: E05C1400 80857022
	v_mfma_i32_16x16x32_i8 v[176:179], a[68:69], v[116:117], v[176:179]// 0000000084AC: D3D700B0 0EC2E944
	v_mfma_i32_16x16x32_i8 v[176:179], a[70:71], v[118:119], v[176:179]// 0000000084B4: D3D700B0 0EC2ED46
	v_mfma_i32_16x16x32_i8 v[176:179], a[72:73], v[120:121], v[176:179]// 0000000084BC: D3D700B0 0EC2F148
	v_mfma_i32_16x16x32_i8 v[176:179], a[74:75], v[122:123], v[176:179]// 0000000084C4: D3D700B0 0EC2F54A
	buffer_load_dwordx4 a[116:119], v35, s[20:23], 0 offen offset:1024// 0000000084CC: E05C1400 80857423
	v_mfma_i32_16x16x32_i8 v[176:179], a[76:77], v[124:125], v[176:179]// 0000000084D4: D3D700B0 0EC2F94C
	v_mfma_i32_16x16x32_i8 v[176:179], a[78:79], v[126:127], v[176:179]// 0000000084DC: D3D700B0 0EC2FD4E
	v_mfma_i32_16x16x32_i8 v[180:183], a[80:81], v[112:113], 0 // 0000000084E4: D3D700B4 0A02E150
	v_mfma_i32_16x16x32_i8 v[180:183], a[82:83], v[114:115], v[180:183]// 0000000084EC: D3D700B4 0ED2E552
	buffer_load_dwordx4 a[120:123], v36, s[20:23], 0 offen offset:1024// 0000000084F4: E05C1400 80857824
	v_mfma_i32_16x16x32_i8 v[180:183], a[84:85], v[116:117], v[180:183]// 0000000084FC: D3D700B4 0ED2E954
	v_mfma_i32_16x16x32_i8 v[180:183], a[86:87], v[118:119], v[180:183]// 000000008504: D3D700B4 0ED2ED56
	v_mfma_i32_16x16x32_i8 v[180:183], a[88:89], v[120:121], v[180:183]// 00000000850C: D3D700B4 0ED2F158
	v_mfma_i32_16x16x32_i8 v[180:183], a[90:91], v[122:123], v[180:183]// 000000008514: D3D700B4 0ED2F55A
	buffer_load_dwordx4 a[124:127], v37, s[20:23], 0 offen offset:1024// 00000000851C: E05C1400 80857C25
	v_mfma_i32_16x16x32_i8 v[180:183], a[92:93], v[124:125], v[180:183]// 000000008524: D3D700B4 0ED2F95C
	s_lshr_b32 s57, s70, 4                                     // 00000000852C: 8F398446
	s_add_u32 s57, 48, s57                                     // 000000008530: 803939B0
	v_mfma_i32_16x16x32_i8 v[180:183], a[94:95], v[126:127], v[180:183]// 000000008534: D3D700B4 0ED2FD5E
	s_cmp_ge_u32 s57, s73                                      // 00000000853C: BF094939
	s_cselect_b32 s56, 0, s56                                  // 000000008540: 85383880
	v_mfma_i32_16x16x32_i8 v[184:187], a[64:65], v[128:129], 0 // 000000008544: D3D700B8 0A030140
	v_mfma_i32_16x16x32_i8 v[184:187], a[66:67], v[130:131], v[184:187]// 00000000854C: D3D700B8 0EE30542
	v_mfma_i32_16x16x32_i8 v[184:187], a[68:69], v[132:133], v[184:187]// 000000008554: D3D700B8 0EE30944
	v_mfma_i32_16x16x32_i8 v[184:187], a[70:71], v[134:135], v[184:187]// 00000000855C: D3D700B8 0EE30D46
	v_mfma_i32_16x16x32_i8 v[184:187], a[72:73], v[136:137], v[184:187]// 000000008564: D3D700B8 0EE31148
	v_mfma_i32_16x16x32_i8 v[184:187], a[74:75], v[138:139], v[184:187]// 00000000856C: D3D700B8 0EE3154A
	v_mfma_i32_16x16x32_i8 v[184:187], a[76:77], v[140:141], v[184:187]// 000000008574: D3D700B8 0EE3194C
	v_mfma_i32_16x16x32_i8 v[184:187], a[78:79], v[142:143], v[184:187]// 00000000857C: D3D700B8 0EE31D4E
	v_mfma_i32_16x16x32_i8 v[188:191], a[80:81], v[128:129], 0 // 000000008584: D3D700BC 0A030150
	v_mfma_i32_16x16x32_i8 v[188:191], a[82:83], v[130:131], v[188:191]// 00000000858C: D3D700BC 0EF30552
	v_mfma_i32_16x16x32_i8 v[188:191], a[84:85], v[132:133], v[188:191]// 000000008594: D3D700BC 0EF30954
	v_mfma_i32_16x16x32_i8 v[188:191], a[86:87], v[134:135], v[188:191]// 00000000859C: D3D700BC 0EF30D56
	v_mfma_i32_16x16x32_i8 v[188:191], a[88:89], v[136:137], v[188:191]// 0000000085A4: D3D700BC 0EF31158
	v_mfma_i32_16x16x32_i8 v[188:191], a[90:91], v[138:139], v[188:191]// 0000000085AC: D3D700BC 0EF3155A
	v_mfma_i32_16x16x32_i8 v[188:191], a[92:93], v[140:141], v[188:191]// 0000000085B4: D3D700BC 0EF3195C
	v_mfma_i32_16x16x32_i8 v[188:191], a[94:95], v[142:143], v[188:191]// 0000000085BC: D3D700BC 0EF31D5E
	v_add_u32_e32 v1, s56, v1                                  // 0000000085C4: 68020238
	s_addk_i32 s70, 0x100                                      // 0000000085C8: B7460100
	s_cmp_lt_i32 s70, s71                                      // 0000000085CC: BF044746
	s_cbranch_scc0 label_1D94                                  // 0000000085D0: BF84049F
	s_waitcnt vmcnt(8) lgkmcnt(0)                              // 0000000085D4: BF8C0078
	v_mul_u32_u24_dpp v64, v16, v54 row_newbcast:0 row_mask:0xf bank_mask:0xf// 0000000085D8: 10806CFA FF015010
	v_mul_u32_u24_dpp v65, v16, v54 row_newbcast:4 row_mask:0xf bank_mask:0xf// 0000000085E0: 10826CFA FF015410
	v_mul_u32_u24_dpp v66, v16, v54 row_newbcast:8 row_mask:0xf bank_mask:0xf// 0000000085E8: 10846CFA FF015810
	v_mul_u32_u24_dpp v67, v16, v54 row_newbcast:12 row_mask:0xf bank_mask:0xf// 0000000085F0: 10866CFA FF015C10
	v_add_u32_e32 v22, v64, v5                                 // 0000000085F8: 682C0B40
	v_add_u32_e32 v23, v65, v5                                 // 0000000085FC: 682E0B41
	v_add_u32_e32 v24, v66, v5                                 // 000000008600: 68300B42
	v_add_u32_e32 v25, v67, v5                                 // 000000008604: 68320B43
	v_mul_u32_u24_dpp v64, v16, v63 quad_perm:[0,0,0,0] row_mask:0xf bank_mask:0xf// 000000008608: 10807EFA FF000010
	v_add_u32_e32 v2, v64, v59                                 // 000000008610: 68047740
	v_mul_u32_u24_dpp v64, v16, v63 quad_perm:[0,0,0,0] row_mask:0xf bank_mask:0xf// 000000008614: 10807EFA FF000010
	v_add_u32_e32 v55, v64, v60                                // 00000000861C: 686E7940
	v_mfma_i32_16x16x32_i8 v[112:115], a[32:33], v[80:81], 0   // 000000008620: D3D70070 0A02A120
	v_mfma_i32_16x16x32_i8 v[112:115], a[34:35], v[82:83], v[112:115]// 000000008628: D3D70070 0DC2A522
	buffer_load_dwordx4 a[0:3], v22, s[16:19], 0 offen         // 000000008630: E05C1000 80840016
	v_mfma_i32_16x16x32_i8 v[112:115], a[36:37], v[84:85], v[112:115]// 000000008638: D3D70070 0DC2A924
	v_mfma_i32_16x16x32_i8 v[112:115], a[38:39], v[86:87], v[112:115]// 000000008640: D3D70070 0DC2AD26
	buffer_load_dword v17, v1, s[24:27], 0 offen               // 000000008648: E0501000 80061101
	v_mfma_i32_16x16x32_i8 v[116:119], a[40:41], v[80:81], 0   // 000000008650: D3D70074 0A02A128
	v_mfma_i32_16x16x32_i8 v[116:119], a[42:43], v[82:83], v[116:119]// 000000008658: D3D70074 0DD2A52A
	buffer_load_dwordx4 a[4:7], v22, s[16:19], 0 offen offset:1024// 000000008660: E05C1400 80840416
	v_mfma_i32_16x16x32_i8 v[116:119], a[44:45], v[84:85], v[116:119]// 000000008668: D3D70074 0DD2A92C
	v_mfma_i32_16x16x32_i8 v[116:119], a[46:47], v[86:87], v[116:119]// 000000008670: D3D70074 0DD2AD2E
	v_mfma_i32_16x16x32_i8 v[120:123], a[48:49], v[80:81], 0   // 000000008678: D3D70078 0A02A130
	v_mfma_i32_16x16x32_i8 v[120:123], a[50:51], v[82:83], v[120:123]// 000000008680: D3D70078 0DE2A532
	buffer_load_dwordx4 a[8:11], v23, s[16:19], 0 offen        // 000000008688: E05C1000 80840817
	v_mfma_i32_16x16x32_i8 v[120:123], a[52:53], v[84:85], v[120:123]// 000000008690: D3D70078 0DE2A934
	v_mfma_i32_16x16x32_i8 v[120:123], a[54:55], v[86:87], v[120:123]// 000000008698: D3D70078 0DE2AD36
	v_mfma_i32_16x16x32_i8 v[124:127], a[56:57], v[80:81], 0   // 0000000086A0: D3D7007C 0A02A138
	v_mfma_i32_16x16x32_i8 v[124:127], a[58:59], v[82:83], v[124:127]// 0000000086A8: D3D7007C 0DF2A53A
	buffer_load_dwordx4 a[12:15], v23, s[16:19], 0 offen offset:1024// 0000000086B0: E05C1400 80840C17
	v_mfma_i32_16x16x32_i8 v[124:127], a[60:61], v[84:85], v[124:127]// 0000000086B8: D3D7007C 0DF2A93C
	v_mfma_i32_16x16x32_i8 v[124:127], a[62:63], v[86:87], v[124:127]// 0000000086C0: D3D7007C 0DF2AD3E
	v_mfma_i32_16x16x32_i8 v[128:131], a[32:33], v[88:89], 0   // 0000000086C8: D3D70080 0A02B120
	v_mfma_i32_16x16x32_i8 v[128:131], a[34:35], v[90:91], v[128:131]// 0000000086D0: D3D70080 0E02B522
	v_mfma_i32_16x16x32_i8 v[128:131], a[36:37], v[92:93], v[128:131]// 0000000086D8: D3D70080 0E02B924
	v_mfma_i32_16x16x32_i8 v[128:131], a[38:39], v[94:95], v[128:131]// 0000000086E0: D3D70080 0E02BD26
	v_mfma_i32_16x16x32_i8 v[132:135], a[40:41], v[88:89], 0   // 0000000086E8: D3D70084 0A02B128
	v_mfma_i32_16x16x32_i8 v[132:135], a[42:43], v[90:91], v[132:135]// 0000000086F0: D3D70084 0E12B52A
	v_mfma_i32_16x16x32_i8 v[132:135], a[44:45], v[92:93], v[132:135]// 0000000086F8: D3D70084 0E12B92C
	v_mfma_i32_16x16x32_i8 v[132:135], a[46:47], v[94:95], v[132:135]// 000000008700: D3D70084 0E12BD2E
	v_mfma_i32_16x16x32_i8 v[136:139], a[48:49], v[88:89], 0   // 000000008708: D3D70088 0A02B130
	v_mfma_i32_16x16x32_i8 v[136:139], a[50:51], v[90:91], v[136:139]// 000000008710: D3D70088 0E22B532
	v_mfma_i32_16x16x32_i8 v[136:139], a[52:53], v[92:93], v[136:139]// 000000008718: D3D70088 0E22B934
	v_mfma_i32_16x16x32_i8 v[136:139], a[54:55], v[94:95], v[136:139]// 000000008720: D3D70088 0E22BD36
	v_mfma_i32_16x16x32_i8 v[140:143], a[56:57], v[88:89], 0   // 000000008728: D3D7008C 0A02B138
	v_mfma_i32_16x16x32_i8 v[140:143], a[58:59], v[90:91], v[140:143]// 000000008730: D3D7008C 0E32B53A
	v_mfma_i32_16x16x32_i8 v[140:143], a[60:61], v[92:93], v[140:143]// 000000008738: D3D7008C 0E32B93C
	v_mfma_i32_16x16x32_i8 v[140:143], a[62:63], v[94:95], v[140:143]// 000000008740: D3D7008C 0E32BD3E
	buffer_load_dword v42, v2, s[32:35], 0 offen               // 000000008748: E0501000 80082A02
	v_mov_b32_dpp v64, v43 row_shr:4 row_mask:0xf bank_mask:0xf// 000000008750: 7E8002FA FF01142B
	v_mov_b32_dpp v65, v43 row_shl:4 row_mask:0xf bank_mask:0xf// 000000008758: 7E8202FA FF01042B
	v_cndmask_b32_e64 v248, v43, v64, s[44:45]                 // 000000008760: D10000F8 00B2812B
	v_cndmask_b32_e64 v249, v65, v43, s[44:45]                 // 000000008768: D10000F9 00B25741
	v_mov_b32_dpp v64, v248 row_shr:8 row_mask:0xf bank_mask:0xf// 000000008770: 7E8002FA FF0118F8
	v_mov_b32_dpp v65, v248 row_shl:8 row_mask:0xf bank_mask:0xf// 000000008778: 7E8202FA FF0108F8
	v_mov_b32_dpp v66, v249 row_shr:8 row_mask:0xf bank_mask:0xf// 000000008780: 7E8402FA FF0118F9
	v_mov_b32_dpp v67, v249 row_shl:8 row_mask:0xf bank_mask:0xf// 000000008788: 7E8602FA FF0108F9
	v_mov_b32_e32 v68, v248                                    // 000000008790: 7E8803F8
	v_mov_b32_e32 v69, v249                                    // 000000008794: 7E8A03F9
	v_cndmask_b32_e64 v248, v68, v64, s[42:43]                 // 000000008798: D10000F8 00AA8144
	v_cndmask_b32_e64 v250, v68, v65, s[78:79]                 // 0000000087A0: D10000FA 013A8344
	v_cndmask_b32_e64 v249, v69, v66, s[42:43]                 // 0000000087A8: D10000F9 00AA8545
	v_cndmask_b32_e64 v251, v69, v67, s[78:79]                 // 0000000087B0: D10000FB 013A8745
	v_mov_b32_dpp v64, v58 row_shr:4 row_mask:0xf bank_mask:0xf// 0000000087B8: 7E8002FA FF01143A
	v_mov_b32_dpp v65, v58 row_shl:4 row_mask:0xf bank_mask:0xf// 0000000087C0: 7E8202FA FF01043A
	v_cndmask_b32_e64 v252, v58, v64, s[44:45]                 // 0000000087C8: D10000FC 00B2813A
	v_cndmask_b32_e64 v253, v65, v58, s[44:45]                 // 0000000087D0: D10000FD 00B27541
	v_mov_b32_dpp v64, v252 row_shr:8 row_mask:0xf bank_mask:0xf// 0000000087D8: 7E8002FA FF0118FC
	v_mov_b32_dpp v65, v252 row_shl:8 row_mask:0xf bank_mask:0xf// 0000000087E0: 7E8202FA FF0108FC
	v_mov_b32_dpp v66, v253 row_shr:8 row_mask:0xf bank_mask:0xf// 0000000087E8: 7E8402FA FF0118FD
	v_mov_b32_dpp v67, v253 row_shl:8 row_mask:0xf bank_mask:0xf// 0000000087F0: 7E8602FA FF0108FD
	v_mov_b32_e32 v68, v252                                    // 0000000087F8: 7E8803FC
	v_mov_b32_e32 v69, v253                                    // 0000000087FC: 7E8A03FD
	v_cndmask_b32_e64 v252, v68, v64, s[42:43]                 // 000000008800: D10000FC 00AA8144
	v_cndmask_b32_e64 v254, v68, v65, s[78:79]                 // 000000008808: D10000FE 013A8344
	v_cndmask_b32_e64 v253, v69, v66, s[42:43]                 // 000000008810: D10000FD 00AA8545
	v_cndmask_b32_e64 v255, v69, v67, s[78:79]                 // 000000008818: D10000FF 013A8745
	buffer_load_dword v57, v55, s[36:39], 0 offen              // 000000008820: E0501000 80093937
	v_cvt_f32_i32_e32 v112, v112                               // 000000008828: 7EE00B70
	v_cvt_f32_i32_e32 v113, v113                               // 00000000882C: 7EE20B71
	v_cvt_f32_i32_e32 v114, v114                               // 000000008830: 7EE40B72
	v_cvt_f32_i32_e32 v115, v115                               // 000000008834: 7EE60B73
	v_cvt_f32_i32_e32 v116, v116                               // 000000008838: 7EE80B74
	v_cvt_f32_i32_e32 v117, v117                               // 00000000883C: 7EEA0B75
	v_cvt_f32_i32_e32 v118, v118                               // 000000008840: 7EEC0B76
	v_cvt_f32_i32_e32 v119, v119                               // 000000008844: 7EEE0B77
	v_cvt_f32_i32_e32 v120, v120                               // 000000008848: 7EF00B78
	v_cvt_f32_i32_e32 v121, v121                               // 00000000884C: 7EF20B79
	v_cvt_f32_i32_e32 v122, v122                               // 000000008850: 7EF40B7A
	v_cvt_f32_i32_e32 v123, v123                               // 000000008854: 7EF60B7B
	v_cvt_f32_i32_e32 v124, v124                               // 000000008858: 7EF80B7C
	v_cvt_f32_i32_e32 v125, v125                               // 00000000885C: 7EFA0B7D
	v_cvt_f32_i32_e32 v126, v126                               // 000000008860: 7EFC0B7E
	v_cvt_f32_i32_e32 v127, v127                               // 000000008864: 7EFE0B7F
	v_mul_f32_e32 v112, v18, v112                              // 000000008868: 0AE0E112
	v_mul_f32_e32 v113, v18, v113                              // 00000000886C: 0AE2E312
	v_mul_f32_e32 v114, v18, v114                              // 000000008870: 0AE4E512
	v_mul_f32_e32 v115, v18, v115                              // 000000008874: 0AE6E712
	v_mul_f32_e32 v116, v18, v116                              // 000000008878: 0AE8E912
	v_mul_f32_e32 v117, v18, v117                              // 00000000887C: 0AEAEB12
	v_mul_f32_e32 v118, v18, v118                              // 000000008880: 0AECED12
	v_mul_f32_e32 v119, v18, v119                              // 000000008884: 0AEEEF12
	v_mul_f32_e32 v120, v18, v120                              // 000000008888: 0AF0F112
	v_mul_f32_e32 v121, v18, v121                              // 00000000888C: 0AF2F312
	v_mul_f32_e32 v122, v18, v122                              // 000000008890: 0AF4F512
	v_mul_f32_e32 v123, v18, v123                              // 000000008894: 0AF6F712
	v_mul_f32_e32 v124, v18, v124                              // 000000008898: 0AF8F912
	v_mul_f32_e32 v125, v18, v125                              // 00000000889C: 0AFAFB12
	v_mul_f32_e32 v126, v18, v126                              // 0000000088A0: 0AFCFD12
	v_mul_f32_e32 v127, v18, v127                              // 0000000088A4: 0AFEFF12
	buffer_load_dwordx4 a[16:19], v24, s[16:19], 0 offen       // 0000000088A8: E05C1000 80841018
	v_mul_f32_dpp v112, v248, v112 quad_perm:[0,0,0,0] row_mask:0xf bank_mask:0xf// 0000000088B0: 0AE0E0FA FF0000F8
	v_mul_f32_dpp v113, v248, v113 quad_perm:[1,1,1,1] row_mask:0xf bank_mask:0xf// 0000000088B8: 0AE2E2FA FF0055F8
	v_mul_f32_dpp v114, v248, v114 quad_perm:[2,2,2,2] row_mask:0xf bank_mask:0xf// 0000000088C0: 0AE4E4FA FF00AAF8
	v_mul_f32_dpp v115, v248, v115 quad_perm:[3,3,3,3] row_mask:0xf bank_mask:0xf// 0000000088C8: 0AE6E6FA FF00FFF8
	v_mul_f32_dpp v116, v249, v116 quad_perm:[0,0,0,0] row_mask:0xf bank_mask:0xf// 0000000088D0: 0AE8E8FA FF0000F9
	v_mul_f32_dpp v117, v249, v117 quad_perm:[1,1,1,1] row_mask:0xf bank_mask:0xf// 0000000088D8: 0AEAEAFA FF0055F9
	v_mul_f32_dpp v118, v249, v118 quad_perm:[2,2,2,2] row_mask:0xf bank_mask:0xf// 0000000088E0: 0AECECFA FF00AAF9
	v_mul_f32_dpp v119, v249, v119 quad_perm:[3,3,3,3] row_mask:0xf bank_mask:0xf// 0000000088E8: 0AEEEEFA FF00FFF9
	v_mul_f32_dpp v120, v250, v120 quad_perm:[0,0,0,0] row_mask:0xf bank_mask:0xf// 0000000088F0: 0AF0F0FA FF0000FA
	v_mul_f32_dpp v121, v250, v121 quad_perm:[1,1,1,1] row_mask:0xf bank_mask:0xf// 0000000088F8: 0AF2F2FA FF0055FA
	v_mul_f32_dpp v122, v250, v122 quad_perm:[2,2,2,2] row_mask:0xf bank_mask:0xf// 000000008900: 0AF4F4FA FF00AAFA
	v_mul_f32_dpp v123, v250, v123 quad_perm:[3,3,3,3] row_mask:0xf bank_mask:0xf// 000000008908: 0AF6F6FA FF00FFFA
	v_mul_f32_dpp v124, v251, v124 quad_perm:[0,0,0,0] row_mask:0xf bank_mask:0xf// 000000008910: 0AF8F8FA FF0000FB
	v_mul_f32_dpp v125, v251, v125 quad_perm:[1,1,1,1] row_mask:0xf bank_mask:0xf// 000000008918: 0AFAFAFA FF0055FB
	v_mul_f32_dpp v126, v251, v126 quad_perm:[2,2,2,2] row_mask:0xf bank_mask:0xf// 000000008920: 0AFCFCFA FF00AAFB
	v_mul_f32_dpp v127, v251, v127 quad_perm:[3,3,3,3] row_mask:0xf bank_mask:0xf// 000000008928: 0AFEFEFA FF00FFFB
	buffer_load_dwordx4 a[20:23], v24, s[16:19], 0 offen offset:1024// 000000008930: E05C1400 80841418
	v_mov_b32_e32 v48, v112                                    // 000000008938: 7E600370
	v_max3_f32 v48, v112, v113, v48                            // 00000000893C: D1D30030 04C2E370
	v_max3_f32 v48, v114, v115, v48                            // 000000008944: D1D30030 04C2E772
	v_max3_f32 v48, v116, v117, v48                            // 00000000894C: D1D30030 04C2EB74
	v_max3_f32 v48, v118, v119, v48                            // 000000008954: D1D30030 04C2EF76
	v_max3_f32 v48, v120, v121, v48                            // 00000000895C: D1D30030 04C2F378
	v_max3_f32 v48, v122, v123, v48                            // 000000008964: D1D30030 04C2F77A
	v_max3_f32 v48, v124, v125, v48                            // 00000000896C: D1D30030 04C2FB7C
	v_max3_f32 v48, v126, v127, v48                            // 000000008974: D1D30030 04C2FF7E
	ds_write_b32 v8, v48 offset:16896                          // 00000000897C: D81A4200 00003008
	buffer_load_dwordx4 a[24:27], v25, s[16:19], 0 offen       // 000000008984: E05C1000 80841819
	v_mul_u32_u24_dpp v64, v16, v54 row_newbcast:1 row_mask:0xf bank_mask:0xf// 00000000898C: 10806CFA FF015110
	v_mul_u32_u24_dpp v65, v16, v54 row_newbcast:5 row_mask:0xf bank_mask:0xf// 000000008994: 10826CFA FF015510
	v_mul_u32_u24_dpp v66, v16, v54 row_newbcast:9 row_mask:0xf bank_mask:0xf// 00000000899C: 10846CFA FF015910
	v_mul_u32_u24_dpp v67, v16, v54 row_newbcast:13 row_mask:0xf bank_mask:0xf// 0000000089A4: 10866CFA FF015D10
	v_add_u32_e32 v30, v64, v6                                 // 0000000089AC: 683C0D40
	v_add_u32_e32 v31, v65, v6                                 // 0000000089B0: 683E0D41
	v_add_u32_e32 v32, v66, v6                                 // 0000000089B4: 68400D42
	v_add_u32_e32 v33, v67, v6                                 // 0000000089B8: 68420D43
	v_mul_f32_e32 v208, v49, v208                              // 0000000089BC: 0BA1A131
	v_mul_f32_e32 v209, v49, v209                              // 0000000089C0: 0BA3A331
	v_mul_f32_e32 v210, v49, v210                              // 0000000089C4: 0BA5A531
	v_mul_f32_e32 v211, v49, v211                              // 0000000089C8: 0BA7A731
	v_mul_f32_e32 v212, v49, v212                              // 0000000089CC: 0BA9A931
	v_mul_f32_e32 v213, v49, v213                              // 0000000089D0: 0BABAB31
	v_mul_f32_e32 v214, v49, v214                              // 0000000089D4: 0BADAD31
	v_mul_f32_e32 v215, v49, v215                              // 0000000089D8: 0BAFAF31
	s_waitcnt lgkmcnt(0)                                       // 0000000089DC: BF8CC07F
	s_barrier                                                  // 0000000089E0: BF8A0000
	ds_read_b32 v64, v7 offset:16896                           // 0000000089E4: D86C4200 40000007
	ds_read_b32 v65, v7 offset:16960                           // 0000000089EC: D86C4240 41000007
	ds_read_b32 v66, v7 offset:17024                           // 0000000089F4: D86C4280 42000007
	ds_read_b32 v67, v7 offset:17088                           // 0000000089FC: D86C42C0 43000007
	ds_read_b32 v68, v7 offset:17152                           // 000000008A04: D86C4300 44000007
	ds_read_b32 v69, v7 offset:17216                           // 000000008A0C: D86C4340 45000007
	ds_read_b32 v70, v7 offset:17280                           // 000000008A14: D86C4380 46000007
	ds_read_b32 v71, v7 offset:17344                           // 000000008A1C: D86C43C0 47000007
	ds_read_b32 v72, v7 offset:17408                           // 000000008A24: D86C4400 48000007
	ds_read_b32 v73, v7 offset:17472                           // 000000008A2C: D86C4440 49000007
	ds_read_b32 v74, v7 offset:17536                           // 000000008A34: D86C4480 4A000007
	ds_read_b32 v75, v7 offset:17600                           // 000000008A3C: D86C44C0 4B000007
	ds_read_b32 v76, v7 offset:17664                           // 000000008A44: D86C4500 4C000007
	ds_read_b32 v77, v7 offset:17728                           // 000000008A4C: D86C4540 4D000007
	ds_read_b32 v78, v7 offset:17792                           // 000000008A54: D86C4580 4E000007
	ds_read_b32 v79, v7 offset:17856                           // 000000008A5C: D86C45C0 4F000007
	buffer_load_dwordx4 a[28:31], v25, s[16:19], 0 offen offset:1024// 000000008A64: E05C1400 80841C19
	v_cvt_f32_i32_e32 v176, v176                               // 000000008A6C: 7F600BB0
	v_cvt_f32_i32_e32 v177, v177                               // 000000008A70: 7F620BB1
	v_cvt_f32_i32_e32 v178, v178                               // 000000008A74: 7F640BB2
	v_cvt_f32_i32_e32 v179, v179                               // 000000008A78: 7F660BB3
	v_cvt_f32_i32_e32 v180, v180                               // 000000008A7C: 7F680BB4
	v_cvt_f32_i32_e32 v181, v181                               // 000000008A80: 7F6A0BB5
	v_cvt_f32_i32_e32 v182, v182                               // 000000008A84: 7F6C0BB6
	v_cvt_f32_i32_e32 v183, v183                               // 000000008A88: 7F6E0BB7
	v_mul_f32_e32 v176, v44, v176                              // 000000008A8C: 0B61612C
	v_mul_f32_e32 v177, v44, v177                              // 000000008A90: 0B63632C
	v_mul_f32_e32 v178, v44, v178                              // 000000008A94: 0B65652C
	v_mul_f32_e32 v179, v44, v179                              // 000000008A98: 0B67672C
	v_mul_f32_e32 v180, v44, v180                              // 000000008A9C: 0B69692C
	v_mul_f32_e32 v181, v44, v181                              // 000000008AA0: 0B6B6B2C
	v_mul_f32_e32 v182, v44, v182                              // 000000008AA4: 0B6D6D2C
	v_mul_f32_e32 v183, v44, v183                              // 000000008AA8: 0B6F6F2C
	s_waitcnt lgkmcnt(0)                                       // 000000008AAC: BF8CC07F
	v_max3_f32 v48, v64, v65, v48                              // 000000008AB0: D1D30030 04C28340
	v_max3_f32 v48, v66, v67, v48                              // 000000008AB8: D1D30030 04C28742
	v_max3_f32 v48, v68, v69, v48                              // 000000008AC0: D1D30030 04C28B44
	v_max3_f32 v48, v70, v71, v48                              // 000000008AC8: D1D30030 04C28F46
	v_max3_f32 v48, v72, v73, v48                              // 000000008AD0: D1D30030 04C29348
	v_max3_f32 v48, v74, v75, v48                              // 000000008AD8: D1D30030 04C2974A
	v_max3_f32 v48, v76, v77, v48                              // 000000008AE0: D1D30030 04C29B4C
	v_max3_f32 v48, v78, v79, v48                              // 000000008AE8: D1D30030 04C29F4E
	buffer_load_dwordx4 a[64:67], v30, s[20:23], 0 offen       // 000000008AF0: E05C1000 8085401E
	v_mov_b32_e32 v64, 0xff800000                              // 000000008AF8: 7E8002FF FF800000
	v_cmp_eq_u32_e64 s[40:41], v64, v11                        // 000000008B00: D0CA0028 00021740
	s_nop 1                                                    // 000000008B08: BF800001
	v_max_f32_e32 v15, v48, v11                                // 000000008B0C: 161E1730
	v_mul_f32_e32 v53, s64, v15                                // 000000008B10: 0A6A1E40
	v_fma_f32 v112, v112, s64, -v53                            // 000000008B14: D1CB0070 84D48170
	v_fma_f32 v113, v113, s64, -v53                            // 000000008B1C: D1CB0071 84D48171
	v_fma_f32 v114, v114, s64, -v53                            // 000000008B24: D1CB0072 84D48172
	v_fma_f32 v115, v115, s64, -v53                            // 000000008B2C: D1CB0073 84D48173
	v_fma_f32 v116, v116, s64, -v53                            // 000000008B34: D1CB0074 84D48174
	v_fma_f32 v117, v117, s64, -v53                            // 000000008B3C: D1CB0075 84D48175
	v_fma_f32 v118, v118, s64, -v53                            // 000000008B44: D1CB0076 84D48176
	v_fma_f32 v119, v119, s64, -v53                            // 000000008B4C: D1CB0077 84D48177
	v_fma_f32 v120, v120, s64, -v53                            // 000000008B54: D1CB0078 84D48178
	v_fma_f32 v121, v121, s64, -v53                            // 000000008B5C: D1CB0079 84D48179
	v_fma_f32 v122, v122, s64, -v53                            // 000000008B64: D1CB007A 84D4817A
	v_fma_f32 v123, v123, s64, -v53                            // 000000008B6C: D1CB007B 84D4817B
	v_fma_f32 v124, v124, s64, -v53                            // 000000008B74: D1CB007C 84D4817C
	v_fma_f32 v125, v125, s64, -v53                            // 000000008B7C: D1CB007D 84D4817D
	v_fma_f32 v126, v126, s64, -v53                            // 000000008B84: D1CB007E 84D4817E
	v_fma_f32 v127, v127, s64, -v53                            // 000000008B8C: D1CB007F 84D4817F
	buffer_load_dwordx4 a[68:71], v31, s[20:23], 0 offen       // 000000008B94: E05C1000 8085441F
	v_exp_f32_e32 v112, v112                                   // 000000008B9C: 7EE04170
	v_exp_f32_e32 v113, v113                                   // 000000008BA0: 7EE24171
	v_exp_f32_e32 v114, v114                                   // 000000008BA4: 7EE44172
	v_exp_f32_e32 v115, v115                                   // 000000008BA8: 7EE64173
	v_exp_f32_e32 v116, v116                                   // 000000008BAC: 7EE84174
	v_exp_f32_e32 v117, v117                                   // 000000008BB0: 7EEA4175
	v_exp_f32_e32 v118, v118                                   // 000000008BB4: 7EEC4176
	v_exp_f32_e32 v119, v119                                   // 000000008BB8: 7EEE4177
	v_exp_f32_e32 v120, v120                                   // 000000008BBC: 7EF04178
	v_exp_f32_e32 v121, v121                                   // 000000008BC0: 7EF24179
	v_exp_f32_e32 v122, v122                                   // 000000008BC4: 7EF4417A
	v_exp_f32_e32 v123, v123                                   // 000000008BC8: 7EF6417B
	v_exp_f32_e32 v124, v124                                   // 000000008BCC: 7EF8417C
	v_exp_f32_e32 v125, v125                                   // 000000008BD0: 7EFA417D
	v_exp_f32_e32 v126, v126                                   // 000000008BD4: 7EFC417E
	v_exp_f32_e32 v127, v127                                   // 000000008BD8: 7EFE417F
	buffer_load_dwordx4 a[72:75], v32, s[20:23], 0 offen       // 000000008BDC: E05C1000 80854820
	v_mul_f32_dpp v240, v252, v112 quad_perm:[0,0,0,0] row_mask:0xf bank_mask:0xf// 000000008BE4: 0BE0E0FA FF0000FC
	v_mul_f32_dpp v241, v252, v113 quad_perm:[1,1,1,1] row_mask:0xf bank_mask:0xf// 000000008BEC: 0BE2E2FA FF0055FC
	v_mul_f32_dpp v242, v252, v114 quad_perm:[2,2,2,2] row_mask:0xf bank_mask:0xf// 000000008BF4: 0BE4E4FA FF00AAFC
	v_mul_f32_dpp v243, v252, v115 quad_perm:[3,3,3,3] row_mask:0xf bank_mask:0xf// 000000008BFC: 0BE6E6FA FF00FFFC
	v_mul_f32_dpp v244, v253, v116 quad_perm:[0,0,0,0] row_mask:0xf bank_mask:0xf// 000000008C04: 0BE8E8FA FF0000FD
	v_mul_f32_dpp v245, v253, v117 quad_perm:[1,1,1,1] row_mask:0xf bank_mask:0xf// 000000008C0C: 0BEAEAFA FF0055FD
	v_mul_f32_dpp v246, v253, v118 quad_perm:[2,2,2,2] row_mask:0xf bank_mask:0xf// 000000008C14: 0BECECFA FF00AAFD
	v_mul_f32_dpp v247, v253, v119 quad_perm:[3,3,3,3] row_mask:0xf bank_mask:0xf// 000000008C1C: 0BEEEEFA FF00FFFD
	v_mul_f32_dpp v248, v254, v120 quad_perm:[0,0,0,0] row_mask:0xf bank_mask:0xf// 000000008C24: 0BF0F0FA FF0000FE
	v_mul_f32_dpp v249, v254, v121 quad_perm:[1,1,1,1] row_mask:0xf bank_mask:0xf// 000000008C2C: 0BF2F2FA FF0055FE
	v_mul_f32_dpp v250, v254, v122 quad_perm:[2,2,2,2] row_mask:0xf bank_mask:0xf// 000000008C34: 0BF4F4FA FF00AAFE
	v_mul_f32_dpp v251, v254, v123 quad_perm:[3,3,3,3] row_mask:0xf bank_mask:0xf// 000000008C3C: 0BF6F6FA FF00FFFE
	v_mul_f32_dpp v252, v255, v124 quad_perm:[0,0,0,0] row_mask:0xf bank_mask:0xf// 000000008C44: 0BF8F8FA FF0000FF
	v_mul_f32_dpp v253, v255, v125 quad_perm:[1,1,1,1] row_mask:0xf bank_mask:0xf// 000000008C4C: 0BFAFAFA FF0055FF
	v_mul_f32_dpp v254, v255, v126 quad_perm:[2,2,2,2] row_mask:0xf bank_mask:0xf// 000000008C54: 0BFCFCFA FF00AAFF
	v_mul_f32_dpp v255, v255, v127 quad_perm:[3,3,3,3] row_mask:0xf bank_mask:0xf// 000000008C5C: 0BFEFEFA FF00FFFF
	v_mov_b32_e32 v48, 0x358637bd                              // 000000008C64: 7E6002FF 358637BD
	v_max3_f32 v48, |v240|, |v241|, v48                        // 000000008C6C: D1D30330 04C3E3F0
	v_max3_f32 v48, |v242|, |v243|, v48                        // 000000008C74: D1D30330 04C3E7F2
	v_max3_f32 v48, |v244|, |v245|, v48                        // 000000008C7C: D1D30330 04C3EBF4
	v_max3_f32 v48, |v246|, |v247|, v48                        // 000000008C84: D1D30330 04C3EFF6
	v_max3_f32 v48, |v248|, |v249|, v48                        // 000000008C8C: D1D30330 04C3F3F8
	v_max3_f32 v48, |v250|, |v251|, v48                        // 000000008C94: D1D30330 04C3F7FA
	v_max3_f32 v48, |v252|, |v253|, v48                        // 000000008C9C: D1D30330 04C3FBFC
	v_max3_f32 v48, |v254|, |v255|, v48                        // 000000008CA4: D1D30330 04C3FFFE
	buffer_load_dwordx4 a[76:79], v33, s[20:23], 0 offen       // 000000008CAC: E05C1000 80854C21
	ds_write_b32 v8, v48 offset:20992                          // 000000008CB4: D81A5200 00003008
	v_sub_f32_e32 v49, v11, v15                                // 000000008CBC: 04621F0B
	v_cndmask_b32_e64 v49, v49, 0, s[40:41]                    // 000000008CC0: D1000031 00A10131
	v_mov_b32_e32 v11, v15                                     // 000000008CC8: 7E16030F
	v_mul_f32_e32 v49, s64, v49                                // 000000008CCC: 0A626240
	v_exp_f32_e32 v49, v49                                     // 000000008CD0: 7E624131
	s_waitcnt lgkmcnt(0)                                       // 000000008CD4: BF8CC07F
	s_barrier                                                  // 000000008CD8: BF8A0000
	ds_read_b32 v64, v7 offset:20992                           // 000000008CDC: D86C5200 40000007
	ds_read_b32 v65, v7 offset:21056                           // 000000008CE4: D86C5240 41000007
	ds_read_b32 v66, v7 offset:21120                           // 000000008CEC: D86C5280 42000007
	ds_read_b32 v67, v7 offset:21184                           // 000000008CF4: D86C52C0 43000007
	ds_read_b32 v68, v7 offset:21248                           // 000000008CFC: D86C5300 44000007
	ds_read_b32 v69, v7 offset:21312                           // 000000008D04: D86C5340 45000007
	ds_read_b32 v70, v7 offset:21376                           // 000000008D0C: D86C5380 46000007
	ds_read_b32 v71, v7 offset:21440                           // 000000008D14: D86C53C0 47000007
	ds_read_b32 v72, v7 offset:21504                           // 000000008D1C: D86C5400 48000007
	ds_read_b32 v73, v7 offset:21568                           // 000000008D24: D86C5440 49000007
	ds_read_b32 v74, v7 offset:21632                           // 000000008D2C: D86C5480 4A000007
	ds_read_b32 v75, v7 offset:21696                           // 000000008D34: D86C54C0 4B000007
	ds_read_b32 v76, v7 offset:21760                           // 000000008D3C: D86C5500 4C000007
	ds_read_b32 v77, v7 offset:21824                           // 000000008D44: D86C5540 4D000007
	ds_read_b32 v78, v7 offset:21888                           // 000000008D4C: D86C5580 4E000007
	ds_read_b32 v79, v7 offset:21952                           // 000000008D54: D86C55C0 4F000007
	v_mul_f32_e32 v38, v49, v38                                // 000000008D5C: 0A4C4D31
	v_mov_b32_e32 v15, v112                                    // 000000008D60: 7E1E0370
	v_add_f32_e32 v15, v113, v15                               // 000000008D64: 021E1F71
	v_add_f32_e32 v15, v114, v15                               // 000000008D68: 021E1F72
	v_add_f32_e32 v15, v115, v15                               // 000000008D6C: 021E1F73
	v_add_f32_e32 v15, v116, v15                               // 000000008D70: 021E1F74
	v_add_f32_e32 v15, v117, v15                               // 000000008D74: 021E1F75
	v_add_f32_e32 v15, v118, v15                               // 000000008D78: 021E1F76
	v_add_f32_e32 v15, v119, v15                               // 000000008D7C: 021E1F77
	v_add_f32_e32 v15, v120, v15                               // 000000008D80: 021E1F78
	v_add_f32_e32 v15, v121, v15                               // 000000008D84: 021E1F79
	v_add_f32_e32 v15, v122, v15                               // 000000008D88: 021E1F7A
	v_add_f32_e32 v15, v123, v15                               // 000000008D8C: 021E1F7B
	v_add_f32_e32 v15, v124, v15                               // 000000008D90: 021E1F7C
	v_add_f32_e32 v15, v125, v15                               // 000000008D94: 021E1F7D
	v_add_f32_e32 v15, v126, v15                               // 000000008D98: 021E1F7E
	v_add_f32_e32 v15, v127, v15                               // 000000008D9C: 021E1F7F
	v_add_f32_e32 v38, v15, v38                                // 000000008DA0: 024C4D0F
	s_waitcnt lgkmcnt(0)                                       // 000000008DA4: BF8CC07F
	v_max3_f32 v48, |v64|, |v65|, v48                          // 000000008DA8: D1D30330 04C28340
	v_max3_f32 v48, |v66|, |v67|, v48                          // 000000008DB0: D1D30330 04C28742
	v_max3_f32 v48, |v68|, |v69|, v48                          // 000000008DB8: D1D30330 04C28B44
	v_max3_f32 v48, |v70|, |v71|, v48                          // 000000008DC0: D1D30330 04C28F46
	v_max3_f32 v48, |v72|, |v73|, v48                          // 000000008DC8: D1D30330 04C29348
	v_max3_f32 v48, |v74|, |v75|, v48                          // 000000008DD0: D1D30330 04C2974A
	v_max3_f32 v48, |v76|, |v77|, v48                          // 000000008DD8: D1D30330 04C29B4C
	v_max3_f32 v48, |v78|, |v79|, v48                          // 000000008DE0: D1D30330 04C29F4E
	s_nop 2                                                    // 000000008DE8: BF800002
	v_rcp_f32_e32 v48, v48                                     // 000000008DEC: 7E604530
	s_nop 1                                                    // 000000008DF0: BF800001
	v_mul_f32_e32 v48, 0x42fe0000, v48                         // 000000008DF4: 0A6060FF 42FE0000
	v_mul_f32_e32 v112, v48, v240                              // 000000008DFC: 0AE1E130
	v_mul_f32_e32 v113, v48, v241                              // 000000008E00: 0AE3E330
	v_mul_f32_e32 v114, v48, v242                              // 000000008E04: 0AE5E530
	v_mul_f32_e32 v115, v48, v243                              // 000000008E08: 0AE7E730
	v_mul_f32_e32 v116, v48, v244                              // 000000008E0C: 0AE9E930
	v_mul_f32_e32 v117, v48, v245                              // 000000008E10: 0AEBEB30
	v_mul_f32_e32 v118, v48, v246                              // 000000008E14: 0AEDED30
	v_mul_f32_e32 v119, v48, v247                              // 000000008E18: 0AEFEF30
	v_mul_f32_e32 v120, v48, v248                              // 000000008E1C: 0AF1F130
	v_mul_f32_e32 v121, v48, v249                              // 000000008E20: 0AF3F330
	v_mul_f32_e32 v122, v48, v250                              // 000000008E24: 0AF5F530
	v_mul_f32_e32 v123, v48, v251                              // 000000008E28: 0AF7F730
	v_mul_f32_e32 v124, v48, v252                              // 000000008E2C: 0AF9F930
	v_mul_f32_e32 v125, v48, v253                              // 000000008E30: 0AFBFB30
	v_mul_f32_e32 v126, v48, v254                              // 000000008E34: 0AFDFD30
	v_mul_f32_e32 v127, v48, v255                              // 000000008E38: 0AFFFF30
	v_cvt_i32_f32_e32 v112, v112                               // 000000008E3C: 7EE01170
	v_cvt_i32_f32_e32 v113, v113                               // 000000008E40: 7EE21171
	v_cvt_i32_f32_e32 v114, v114                               // 000000008E44: 7EE41172
	v_cvt_i32_f32_e32 v115, v115                               // 000000008E48: 7EE61173
	v_cvt_i32_f32_e32 v116, v116                               // 000000008E4C: 7EE81174
	v_cvt_i32_f32_e32 v117, v117                               // 000000008E50: 7EEA1175
	v_cvt_i32_f32_e32 v118, v118                               // 000000008E54: 7EEC1176
	v_cvt_i32_f32_e32 v119, v119                               // 000000008E58: 7EEE1177
	v_cvt_i32_f32_e32 v120, v120                               // 000000008E5C: 7EF01178
	v_cvt_i32_f32_e32 v121, v121                               // 000000008E60: 7EF21179
	v_cvt_i32_f32_e32 v122, v122                               // 000000008E64: 7EF4117A
	v_cvt_i32_f32_e32 v123, v123                               // 000000008E68: 7EF6117B
	v_cvt_i32_f32_e32 v124, v124                               // 000000008E6C: 7EF8117C
	v_cvt_i32_f32_e32 v125, v125                               // 000000008E70: 7EFA117D
	v_cvt_i32_f32_e32 v126, v126                               // 000000008E74: 7EFC117E
	v_cvt_i32_f32_e32 v127, v127                               // 000000008E78: 7EFE117F
	v_perm_b32 v112, v113, v112, s53                           // 000000008E7C: D1ED0070 00D6E171
	v_perm_b32 v112, v114, v112, s54                           // 000000008E84: D1ED0070 00DAE172
	v_perm_b32 v112, v115, v112, s55                           // 000000008E8C: D1ED0070 00DEE173
	v_perm_b32 v113, v117, v116, s53                           // 000000008E94: D1ED0071 00D6E975
	v_perm_b32 v113, v118, v113, s54                           // 000000008E9C: D1ED0071 00DAE376
	v_perm_b32 v113, v119, v113, s55                           // 000000008EA4: D1ED0071 00DEE377
	v_perm_b32 v114, v121, v120, s53                           // 000000008EAC: D1ED0072 00D6F179
	v_perm_b32 v114, v122, v114, s54                           // 000000008EB4: D1ED0072 00DAE57A
	v_perm_b32 v114, v123, v114, s55                           // 000000008EBC: D1ED0072 00DEE57B
	v_perm_b32 v115, v125, v124, s53                           // 000000008EC4: D1ED0073 00D6F97D
	v_perm_b32 v115, v126, v115, s54                           // 000000008ECC: D1ED0073 00DAE77E
	v_perm_b32 v115, v127, v115, s55                           // 000000008ED4: D1ED0073 00DEE77F
	ds_write_b32 v10, v112 offset:25088                        // 000000008EDC: D81A6200 0000700A
	ds_write_b32 v10, v113 offset:26112                        // 000000008EE4: D81A6600 0000710A
	ds_write_b32 v10, v114 offset:27136                        // 000000008EEC: D81A6A00 0000720A
	ds_write_b32 v10, v115 offset:28160                        // 000000008EF4: D81A6E00 0000730A
	v_add_f32_e32 v208, v208, v176                             // 000000008EFC: 03A161D0
	v_add_f32_e32 v209, v209, v177                             // 000000008F00: 03A363D1
	v_add_f32_e32 v210, v210, v178                             // 000000008F04: 03A565D2
	v_add_f32_e32 v211, v211, v179                             // 000000008F08: 03A767D3
	v_add_f32_e32 v212, v212, v180                             // 000000008F0C: 03A969D4
	v_add_f32_e32 v213, v213, v181                             // 000000008F10: 03AB6BD5
	v_add_f32_e32 v214, v214, v182                             // 000000008F14: 03AD6DD6
	v_add_f32_e32 v215, v215, v183                             // 000000008F18: 03AF6FD7
	v_rcp_f32_e32 v44, v48                                     // 000000008F1C: 7E584530
	s_waitcnt lgkmcnt(0)                                       // 000000008F20: BF8CC07F
	s_barrier                                                  // 000000008F24: BF8A0000
	ds_read_b64 v[112:113], v9 offset:25088                    // 000000008F28: D8EC6200 70000009
	ds_read_b64 v[114:115], v9 offset:25216                    // 000000008F30: D8EC6280 72000009
	ds_read_b64 v[116:117], v9 offset:26112                    // 000000008F38: D8EC6600 74000009
	ds_read_b64 v[118:119], v9 offset:26240                    // 000000008F40: D8EC6680 76000009
	ds_read_b64 v[120:121], v9 offset:27136                    // 000000008F48: D8EC6A00 78000009
	ds_read_b64 v[122:123], v9 offset:27264                    // 000000008F50: D8EC6A80 7A000009
	ds_read_b64 v[124:125], v9 offset:28160                    // 000000008F58: D8EC6E00 7C000009
	ds_read_b64 v[126:127], v9 offset:28288                    // 000000008F60: D8EC6E80 7E000009
	v_mov_b32_dpp v64, v43 row_shr:4 row_mask:0xf bank_mask:0xf// 000000008F68: 7E8002FA FF01142B
	v_mov_b32_dpp v65, v43 row_shl:4 row_mask:0xf bank_mask:0xf// 000000008F70: 7E8202FA FF01042B
	v_cndmask_b32_e64 v248, v43, v64, s[44:45]                 // 000000008F78: D10000F8 00B2812B
	v_cndmask_b32_e64 v249, v65, v43, s[44:45]                 // 000000008F80: D10000F9 00B25741
	v_mov_b32_dpp v64, v248 row_shr:8 row_mask:0xf bank_mask:0xf// 000000008F88: 7E8002FA FF0118F8
	v_mov_b32_dpp v65, v248 row_shl:8 row_mask:0xf bank_mask:0xf// 000000008F90: 7E8202FA FF0108F8
	v_mov_b32_dpp v66, v249 row_shr:8 row_mask:0xf bank_mask:0xf// 000000008F98: 7E8402FA FF0118F9
	v_mov_b32_dpp v67, v249 row_shl:8 row_mask:0xf bank_mask:0xf// 000000008FA0: 7E8602FA FF0108F9
	v_mov_b32_e32 v68, v248                                    // 000000008FA8: 7E8803F8
	v_mov_b32_e32 v69, v249                                    // 000000008FAC: 7E8A03F9
	v_cndmask_b32_e64 v248, v68, v64, s[42:43]                 // 000000008FB0: D10000F8 00AA8144
	v_cndmask_b32_e64 v250, v68, v65, s[78:79]                 // 000000008FB8: D10000FA 013A8344
	v_cndmask_b32_e64 v249, v69, v66, s[42:43]                 // 000000008FC0: D10000F9 00AA8545
	v_cndmask_b32_e64 v251, v69, v67, s[78:79]                 // 000000008FC8: D10000FB 013A8745
	v_mov_b32_dpp v64, v58 row_shr:4 row_mask:0xf bank_mask:0xf// 000000008FD0: 7E8002FA FF01143A
	v_mov_b32_dpp v65, v58 row_shl:4 row_mask:0xf bank_mask:0xf// 000000008FD8: 7E8202FA FF01043A
	v_cndmask_b32_e64 v252, v58, v64, s[44:45]                 // 000000008FE0: D10000FC 00B2813A
	v_cndmask_b32_e64 v253, v65, v58, s[44:45]                 // 000000008FE8: D10000FD 00B27541
	v_mov_b32_dpp v64, v252 row_shr:8 row_mask:0xf bank_mask:0xf// 000000008FF0: 7E8002FA FF0118FC
	v_mov_b32_dpp v65, v252 row_shl:8 row_mask:0xf bank_mask:0xf// 000000008FF8: 7E8202FA FF0108FC
	v_mov_b32_dpp v66, v253 row_shr:8 row_mask:0xf bank_mask:0xf// 000000009000: 7E8402FA FF0118FD
	v_mov_b32_dpp v67, v253 row_shl:8 row_mask:0xf bank_mask:0xf// 000000009008: 7E8602FA FF0108FD
	v_mov_b32_e32 v68, v252                                    // 000000009010: 7E8803FC
	v_mov_b32_e32 v69, v253                                    // 000000009014: 7E8A03FD
	v_cndmask_b32_e64 v252, v68, v64, s[42:43]                 // 000000009018: D10000FC 00AA8144
	v_cndmask_b32_e64 v254, v68, v65, s[78:79]                 // 000000009020: D10000FE 013A8344
	v_cndmask_b32_e64 v253, v69, v66, s[42:43]                 // 000000009028: D10000FD 00AA8545
	v_cndmask_b32_e64 v255, v69, v67, s[78:79]                 // 000000009030: D10000FF 013A8745
	v_cvt_f32_i32_e32 v128, v128                               // 000000009038: 7F000B80
	v_cvt_f32_i32_e32 v129, v129                               // 00000000903C: 7F020B81
	v_cvt_f32_i32_e32 v130, v130                               // 000000009040: 7F040B82
	v_cvt_f32_i32_e32 v131, v131                               // 000000009044: 7F060B83
	v_cvt_f32_i32_e32 v132, v132                               // 000000009048: 7F080B84
	v_cvt_f32_i32_e32 v133, v133                               // 00000000904C: 7F0A0B85
	v_cvt_f32_i32_e32 v134, v134                               // 000000009050: 7F0C0B86
	v_cvt_f32_i32_e32 v135, v135                               // 000000009054: 7F0E0B87
	v_cvt_f32_i32_e32 v136, v136                               // 000000009058: 7F100B88
	v_cvt_f32_i32_e32 v137, v137                               // 00000000905C: 7F120B89
	v_cvt_f32_i32_e32 v138, v138                               // 000000009060: 7F140B8A
	v_cvt_f32_i32_e32 v139, v139                               // 000000009064: 7F160B8B
	v_cvt_f32_i32_e32 v140, v140                               // 000000009068: 7F180B8C
	v_cvt_f32_i32_e32 v141, v141                               // 00000000906C: 7F1A0B8D
	v_cvt_f32_i32_e32 v142, v142                               // 000000009070: 7F1C0B8E
	v_cvt_f32_i32_e32 v143, v143                               // 000000009074: 7F1E0B8F
	v_mul_f32_e32 v128, v19, v128                              // 000000009078: 0B010113
	v_mul_f32_e32 v129, v19, v129                              // 00000000907C: 0B030313
	v_mul_f32_e32 v130, v19, v130                              // 000000009080: 0B050513
	v_mul_f32_e32 v131, v19, v131                              // 000000009084: 0B070713
	v_mul_f32_e32 v132, v19, v132                              // 000000009088: 0B090913
	v_mul_f32_e32 v133, v19, v133                              // 00000000908C: 0B0B0B13
	v_mul_f32_e32 v134, v19, v134                              // 000000009090: 0B0D0D13
	v_mul_f32_e32 v135, v19, v135                              // 000000009094: 0B0F0F13
	v_mul_f32_e32 v136, v19, v136                              // 000000009098: 0B111113
	v_mul_f32_e32 v137, v19, v137                              // 00000000909C: 0B131313
	v_mul_f32_e32 v138, v19, v138                              // 0000000090A0: 0B151513
	v_mul_f32_e32 v139, v19, v139                              // 0000000090A4: 0B171713
	v_mul_f32_e32 v140, v19, v140                              // 0000000090A8: 0B191913
	v_mul_f32_e32 v141, v19, v141                              // 0000000090AC: 0B1B1B13
	v_mul_f32_e32 v142, v19, v142                              // 0000000090B0: 0B1D1D13
	v_mul_f32_e32 v143, v19, v143                              // 0000000090B4: 0B1F1F13
	v_mul_f32_dpp v128, v248, v128 quad_perm:[0,0,0,0] row_mask:0xf bank_mask:0xf// 0000000090B8: 0B0100FA FF0000F8
	v_mul_f32_dpp v129, v248, v129 quad_perm:[1,1,1,1] row_mask:0xf bank_mask:0xf// 0000000090C0: 0B0302FA FF0055F8
	v_mul_f32_dpp v130, v248, v130 quad_perm:[2,2,2,2] row_mask:0xf bank_mask:0xf// 0000000090C8: 0B0504FA FF00AAF8
	v_mul_f32_dpp v131, v248, v131 quad_perm:[3,3,3,3] row_mask:0xf bank_mask:0xf// 0000000090D0: 0B0706FA FF00FFF8
	v_mul_f32_dpp v132, v249, v132 quad_perm:[0,0,0,0] row_mask:0xf bank_mask:0xf// 0000000090D8: 0B0908FA FF0000F9
	v_mul_f32_dpp v133, v249, v133 quad_perm:[1,1,1,1] row_mask:0xf bank_mask:0xf// 0000000090E0: 0B0B0AFA FF0055F9
	v_mul_f32_dpp v134, v249, v134 quad_perm:[2,2,2,2] row_mask:0xf bank_mask:0xf// 0000000090E8: 0B0D0CFA FF00AAF9
	v_mul_f32_dpp v135, v249, v135 quad_perm:[3,3,3,3] row_mask:0xf bank_mask:0xf// 0000000090F0: 0B0F0EFA FF00FFF9
	v_mul_f32_dpp v136, v250, v136 quad_perm:[0,0,0,0] row_mask:0xf bank_mask:0xf// 0000000090F8: 0B1110FA FF0000FA
	v_mul_f32_dpp v137, v250, v137 quad_perm:[1,1,1,1] row_mask:0xf bank_mask:0xf// 000000009100: 0B1312FA FF0055FA
	v_mul_f32_dpp v138, v250, v138 quad_perm:[2,2,2,2] row_mask:0xf bank_mask:0xf// 000000009108: 0B1514FA FF00AAFA
	v_mul_f32_dpp v139, v250, v139 quad_perm:[3,3,3,3] row_mask:0xf bank_mask:0xf// 000000009110: 0B1716FA FF00FFFA
	v_mul_f32_dpp v140, v251, v140 quad_perm:[0,0,0,0] row_mask:0xf bank_mask:0xf// 000000009118: 0B1918FA FF0000FB
	v_mul_f32_dpp v141, v251, v141 quad_perm:[1,1,1,1] row_mask:0xf bank_mask:0xf// 000000009120: 0B1B1AFA FF0055FB
	v_mul_f32_dpp v142, v251, v142 quad_perm:[2,2,2,2] row_mask:0xf bank_mask:0xf// 000000009128: 0B1D1CFA FF00AAFB
	v_mul_f32_dpp v143, v251, v143 quad_perm:[3,3,3,3] row_mask:0xf bank_mask:0xf// 000000009130: 0B1F1EFA FF00FFFB
	v_mov_b32_e32 v48, v128                                    // 000000009138: 7E600380
	v_max3_f32 v48, v128, v129, v48                            // 00000000913C: D1D30030 04C30380
	v_max3_f32 v48, v130, v131, v48                            // 000000009144: D1D30030 04C30782
	v_max3_f32 v48, v132, v133, v48                            // 00000000914C: D1D30030 04C30B84
	v_max3_f32 v48, v134, v135, v48                            // 000000009154: D1D30030 04C30F86
	v_max3_f32 v48, v136, v137, v48                            // 00000000915C: D1D30030 04C31388
	v_max3_f32 v48, v138, v139, v48                            // 000000009164: D1D30030 04C3178A
	v_max3_f32 v48, v140, v141, v48                            // 00000000916C: D1D30030 04C31B8C
	v_max3_f32 v48, v142, v143, v48                            // 000000009174: D1D30030 04C31F8E
	ds_write_b32 v8, v48 offset:16896                          // 00000000917C: D81A4200 00003008
	v_mul_f32_e32 v216, v50, v216                              // 000000009184: 0BB1B132
	v_mul_f32_e32 v217, v50, v217                              // 000000009188: 0BB3B332
	v_mul_f32_e32 v218, v50, v218                              // 00000000918C: 0BB5B532
	v_mul_f32_e32 v219, v50, v219                              // 000000009190: 0BB7B732
	v_mul_f32_e32 v220, v50, v220                              // 000000009194: 0BB9B932
	v_mul_f32_e32 v221, v50, v221                              // 000000009198: 0BBBBB32
	v_mul_f32_e32 v222, v50, v222                              // 00000000919C: 0BBDBD32
	v_mul_f32_e32 v223, v50, v223                              // 0000000091A0: 0BBFBF32
	s_waitcnt lgkmcnt(0)                                       // 0000000091A4: BF8CC07F
	s_barrier                                                  // 0000000091A8: BF8A0000
	ds_read_b32 v64, v7 offset:16896                           // 0000000091AC: D86C4200 40000007
	ds_read_b32 v65, v7 offset:16960                           // 0000000091B4: D86C4240 41000007
	ds_read_b32 v66, v7 offset:17024                           // 0000000091BC: D86C4280 42000007
	ds_read_b32 v67, v7 offset:17088                           // 0000000091C4: D86C42C0 43000007
	ds_read_b32 v68, v7 offset:17152                           // 0000000091CC: D86C4300 44000007
	ds_read_b32 v69, v7 offset:17216                           // 0000000091D4: D86C4340 45000007
	ds_read_b32 v70, v7 offset:17280                           // 0000000091DC: D86C4380 46000007
	ds_read_b32 v71, v7 offset:17344                           // 0000000091E4: D86C43C0 47000007
	ds_read_b32 v72, v7 offset:17408                           // 0000000091EC: D86C4400 48000007
	ds_read_b32 v73, v7 offset:17472                           // 0000000091F4: D86C4440 49000007
	ds_read_b32 v74, v7 offset:17536                           // 0000000091FC: D86C4480 4A000007
	ds_read_b32 v75, v7 offset:17600                           // 000000009204: D86C44C0 4B000007
	ds_read_b32 v76, v7 offset:17664                           // 00000000920C: D86C4500 4C000007
	ds_read_b32 v77, v7 offset:17728                           // 000000009214: D86C4540 4D000007
	ds_read_b32 v78, v7 offset:17792                           // 00000000921C: D86C4580 4E000007
	ds_read_b32 v79, v7 offset:17856                           // 000000009224: D86C45C0 4F000007
	v_cvt_f32_i32_e32 v184, v184                               // 00000000922C: 7F700BB8
	v_cvt_f32_i32_e32 v185, v185                               // 000000009230: 7F720BB9
	v_cvt_f32_i32_e32 v186, v186                               // 000000009234: 7F740BBA
	v_cvt_f32_i32_e32 v187, v187                               // 000000009238: 7F760BBB
	v_cvt_f32_i32_e32 v188, v188                               // 00000000923C: 7F780BBC
	v_cvt_f32_i32_e32 v189, v189                               // 000000009240: 7F7A0BBD
	v_cvt_f32_i32_e32 v190, v190                               // 000000009244: 7F7C0BBE
	v_cvt_f32_i32_e32 v191, v191                               // 000000009248: 7F7E0BBF
	v_mul_f32_e32 v184, v45, v184                              // 00000000924C: 0B71712D
	v_mul_f32_e32 v185, v45, v185                              // 000000009250: 0B73732D
	v_mul_f32_e32 v186, v45, v186                              // 000000009254: 0B75752D
	v_mul_f32_e32 v187, v45, v187                              // 000000009258: 0B77772D
	v_mul_f32_e32 v188, v45, v188                              // 00000000925C: 0B79792D
	v_mul_f32_e32 v189, v45, v189                              // 000000009260: 0B7B7B2D
	v_mul_f32_e32 v190, v45, v190                              // 000000009264: 0B7D7D2D
	v_mul_f32_e32 v191, v45, v191                              // 000000009268: 0B7F7F2D
	s_waitcnt lgkmcnt(0)                                       // 00000000926C: BF8CC07F
	v_max3_f32 v48, v64, v65, v48                              // 000000009270: D1D30030 04C28340
	v_max3_f32 v48, v66, v67, v48                              // 000000009278: D1D30030 04C28742
	v_max3_f32 v48, v68, v69, v48                              // 000000009280: D1D30030 04C28B44
	v_max3_f32 v48, v70, v71, v48                              // 000000009288: D1D30030 04C28F46
	v_max3_f32 v48, v72, v73, v48                              // 000000009290: D1D30030 04C29348
	v_max3_f32 v48, v74, v75, v48                              // 000000009298: D1D30030 04C2974A
	v_max3_f32 v48, v76, v77, v48                              // 0000000092A0: D1D30030 04C29B4C
	v_max3_f32 v48, v78, v79, v48                              // 0000000092A8: D1D30030 04C29F4E
	v_mov_b32_e32 v64, 0xff800000                              // 0000000092B0: 7E8002FF FF800000
	v_cmp_eq_u32_e64 s[40:41], v64, v12                        // 0000000092B8: D0CA0028 00021940
	s_nop 1                                                    // 0000000092C0: BF800001
	v_max_f32_e32 v15, v48, v12                                // 0000000092C4: 161E1930
	v_mul_f32_e32 v53, s64, v15                                // 0000000092C8: 0A6A1E40
	v_fma_f32 v128, v128, s64, -v53                            // 0000000092CC: D1CB0080 84D48180
	v_fma_f32 v129, v129, s64, -v53                            // 0000000092D4: D1CB0081 84D48181
	v_fma_f32 v130, v130, s64, -v53                            // 0000000092DC: D1CB0082 84D48182
	v_fma_f32 v131, v131, s64, -v53                            // 0000000092E4: D1CB0083 84D48183
	v_fma_f32 v132, v132, s64, -v53                            // 0000000092EC: D1CB0084 84D48184
	v_fma_f32 v133, v133, s64, -v53                            // 0000000092F4: D1CB0085 84D48185
	v_fma_f32 v134, v134, s64, -v53                            // 0000000092FC: D1CB0086 84D48186
	v_fma_f32 v135, v135, s64, -v53                            // 000000009304: D1CB0087 84D48187
	v_fma_f32 v136, v136, s64, -v53                            // 00000000930C: D1CB0088 84D48188
	v_fma_f32 v137, v137, s64, -v53                            // 000000009314: D1CB0089 84D48189
	v_fma_f32 v138, v138, s64, -v53                            // 00000000931C: D1CB008A 84D4818A
	v_fma_f32 v139, v139, s64, -v53                            // 000000009324: D1CB008B 84D4818B
	v_fma_f32 v140, v140, s64, -v53                            // 00000000932C: D1CB008C 84D4818C
	v_fma_f32 v141, v141, s64, -v53                            // 000000009334: D1CB008D 84D4818D
	v_fma_f32 v142, v142, s64, -v53                            // 00000000933C: D1CB008E 84D4818E
	v_fma_f32 v143, v143, s64, -v53                            // 000000009344: D1CB008F 84D4818F
	v_exp_f32_e32 v128, v128                                   // 00000000934C: 7F004180
	v_exp_f32_e32 v129, v129                                   // 000000009350: 7F024181
	v_exp_f32_e32 v130, v130                                   // 000000009354: 7F044182
	v_exp_f32_e32 v131, v131                                   // 000000009358: 7F064183
	v_exp_f32_e32 v132, v132                                   // 00000000935C: 7F084184
	v_exp_f32_e32 v133, v133                                   // 000000009360: 7F0A4185
	v_exp_f32_e32 v134, v134                                   // 000000009364: 7F0C4186
	v_exp_f32_e32 v135, v135                                   // 000000009368: 7F0E4187
	v_exp_f32_e32 v136, v136                                   // 00000000936C: 7F104188
	v_exp_f32_e32 v137, v137                                   // 000000009370: 7F124189
	v_exp_f32_e32 v138, v138                                   // 000000009374: 7F14418A
	v_exp_f32_e32 v139, v139                                   // 000000009378: 7F16418B
	v_exp_f32_e32 v140, v140                                   // 00000000937C: 7F18418C
	v_exp_f32_e32 v141, v141                                   // 000000009380: 7F1A418D
	v_exp_f32_e32 v142, v142                                   // 000000009384: 7F1C418E
	v_exp_f32_e32 v143, v143                                   // 000000009388: 7F1E418F
	v_mul_f32_dpp v240, v252, v128 quad_perm:[0,0,0,0] row_mask:0xf bank_mask:0xf// 00000000938C: 0BE100FA FF0000FC
	v_mul_f32_dpp v241, v252, v129 quad_perm:[1,1,1,1] row_mask:0xf bank_mask:0xf// 000000009394: 0BE302FA FF0055FC
	v_mul_f32_dpp v242, v252, v130 quad_perm:[2,2,2,2] row_mask:0xf bank_mask:0xf// 00000000939C: 0BE504FA FF00AAFC
	v_mul_f32_dpp v243, v252, v131 quad_perm:[3,3,3,3] row_mask:0xf bank_mask:0xf// 0000000093A4: 0BE706FA FF00FFFC
	v_mul_f32_dpp v244, v253, v132 quad_perm:[0,0,0,0] row_mask:0xf bank_mask:0xf// 0000000093AC: 0BE908FA FF0000FD
	v_mul_f32_dpp v245, v253, v133 quad_perm:[1,1,1,1] row_mask:0xf bank_mask:0xf// 0000000093B4: 0BEB0AFA FF0055FD
	v_mul_f32_dpp v246, v253, v134 quad_perm:[2,2,2,2] row_mask:0xf bank_mask:0xf// 0000000093BC: 0BED0CFA FF00AAFD
	v_mul_f32_dpp v247, v253, v135 quad_perm:[3,3,3,3] row_mask:0xf bank_mask:0xf// 0000000093C4: 0BEF0EFA FF00FFFD
	v_mul_f32_dpp v248, v254, v136 quad_perm:[0,0,0,0] row_mask:0xf bank_mask:0xf// 0000000093CC: 0BF110FA FF0000FE
	v_mul_f32_dpp v249, v254, v137 quad_perm:[1,1,1,1] row_mask:0xf bank_mask:0xf// 0000000093D4: 0BF312FA FF0055FE
	v_mul_f32_dpp v250, v254, v138 quad_perm:[2,2,2,2] row_mask:0xf bank_mask:0xf// 0000000093DC: 0BF514FA FF00AAFE
	v_mul_f32_dpp v251, v254, v139 quad_perm:[3,3,3,3] row_mask:0xf bank_mask:0xf// 0000000093E4: 0BF716FA FF00FFFE
	v_mul_f32_dpp v252, v255, v140 quad_perm:[0,0,0,0] row_mask:0xf bank_mask:0xf// 0000000093EC: 0BF918FA FF0000FF
	v_mul_f32_dpp v253, v255, v141 quad_perm:[1,1,1,1] row_mask:0xf bank_mask:0xf// 0000000093F4: 0BFB1AFA FF0055FF
	v_mul_f32_dpp v254, v255, v142 quad_perm:[2,2,2,2] row_mask:0xf bank_mask:0xf// 0000000093FC: 0BFD1CFA FF00AAFF
	v_mul_f32_dpp v255, v255, v143 quad_perm:[3,3,3,3] row_mask:0xf bank_mask:0xf// 000000009404: 0BFF1EFA FF00FFFF
	v_mov_b32_e32 v48, 0x358637bd                              // 00000000940C: 7E6002FF 358637BD
	v_max3_f32 v48, |v240|, |v241|, v48                        // 000000009414: D1D30330 04C3E3F0
	v_max3_f32 v48, |v242|, |v243|, v48                        // 00000000941C: D1D30330 04C3E7F2
	v_max3_f32 v48, |v244|, |v245|, v48                        // 000000009424: D1D30330 04C3EBF4
	v_max3_f32 v48, |v246|, |v247|, v48                        // 00000000942C: D1D30330 04C3EFF6
	v_max3_f32 v48, |v248|, |v249|, v48                        // 000000009434: D1D30330 04C3F3F8
	v_max3_f32 v48, |v250|, |v251|, v48                        // 00000000943C: D1D30330 04C3F7FA
	v_max3_f32 v48, |v252|, |v253|, v48                        // 000000009444: D1D30330 04C3FBFC
	v_max3_f32 v48, |v254|, |v255|, v48                        // 00000000944C: D1D30330 04C3FFFE
	ds_write_b32 v8, v48 offset:20992                          // 000000009454: D81A5200 00003008
	v_sub_f32_e32 v50, v12, v15                                // 00000000945C: 04641F0C
	v_cndmask_b32_e64 v50, v50, 0, s[40:41]                    // 000000009460: D1000032 00A10132
	v_mov_b32_e32 v12, v15                                     // 000000009468: 7E18030F
	v_mul_f32_e32 v50, s64, v50                                // 00000000946C: 0A646440
	v_exp_f32_e32 v50, v50                                     // 000000009470: 7E644132
	s_waitcnt lgkmcnt(0)                                       // 000000009474: BF8CC07F
	s_barrier                                                  // 000000009478: BF8A0000
	ds_read_b32 v64, v7 offset:20992                           // 00000000947C: D86C5200 40000007
	ds_read_b32 v65, v7 offset:21056                           // 000000009484: D86C5240 41000007
	ds_read_b32 v66, v7 offset:21120                           // 00000000948C: D86C5280 42000007
	ds_read_b32 v67, v7 offset:21184                           // 000000009494: D86C52C0 43000007
	ds_read_b32 v68, v7 offset:21248                           // 00000000949C: D86C5300 44000007
	ds_read_b32 v69, v7 offset:21312                           // 0000000094A4: D86C5340 45000007
	ds_read_b32 v70, v7 offset:21376                           // 0000000094AC: D86C5380 46000007
	ds_read_b32 v71, v7 offset:21440                           // 0000000094B4: D86C53C0 47000007
	ds_read_b32 v72, v7 offset:21504                           // 0000000094BC: D86C5400 48000007
	ds_read_b32 v73, v7 offset:21568                           // 0000000094C4: D86C5440 49000007
	ds_read_b32 v74, v7 offset:21632                           // 0000000094CC: D86C5480 4A000007
	ds_read_b32 v75, v7 offset:21696                           // 0000000094D4: D86C54C0 4B000007
	ds_read_b32 v76, v7 offset:21760                           // 0000000094DC: D86C5500 4C000007
	ds_read_b32 v77, v7 offset:21824                           // 0000000094E4: D86C5540 4D000007
	ds_read_b32 v78, v7 offset:21888                           // 0000000094EC: D86C5580 4E000007
	ds_read_b32 v79, v7 offset:21952                           // 0000000094F4: D86C55C0 4F000007
	v_mul_f32_e32 v39, v50, v39                                // 0000000094FC: 0A4E4F32
	v_mov_b32_e32 v15, v128                                    // 000000009500: 7E1E0380
	v_add_f32_e32 v15, v129, v15                               // 000000009504: 021E1F81
	v_add_f32_e32 v15, v130, v15                               // 000000009508: 021E1F82
	v_add_f32_e32 v15, v131, v15                               // 00000000950C: 021E1F83
	v_add_f32_e32 v15, v132, v15                               // 000000009510: 021E1F84
	v_add_f32_e32 v15, v133, v15                               // 000000009514: 021E1F85
	v_add_f32_e32 v15, v134, v15                               // 000000009518: 021E1F86
	v_add_f32_e32 v15, v135, v15                               // 00000000951C: 021E1F87
	v_add_f32_e32 v15, v136, v15                               // 000000009520: 021E1F88
	v_add_f32_e32 v15, v137, v15                               // 000000009524: 021E1F89
	v_add_f32_e32 v15, v138, v15                               // 000000009528: 021E1F8A
	v_add_f32_e32 v15, v139, v15                               // 00000000952C: 021E1F8B
	v_add_f32_e32 v15, v140, v15                               // 000000009530: 021E1F8C
	v_add_f32_e32 v15, v141, v15                               // 000000009534: 021E1F8D
	v_add_f32_e32 v15, v142, v15                               // 000000009538: 021E1F8E
	v_add_f32_e32 v15, v143, v15                               // 00000000953C: 021E1F8F
	v_add_f32_e32 v39, v15, v39                                // 000000009540: 024E4F0F
	s_waitcnt lgkmcnt(0)                                       // 000000009544: BF8CC07F
	v_max3_f32 v48, |v64|, |v65|, v48                          // 000000009548: D1D30330 04C28340
	v_max3_f32 v48, |v66|, |v67|, v48                          // 000000009550: D1D30330 04C28742
	v_max3_f32 v48, |v68|, |v69|, v48                          // 000000009558: D1D30330 04C28B44
	v_max3_f32 v48, |v70|, |v71|, v48                          // 000000009560: D1D30330 04C28F46
	v_max3_f32 v48, |v72|, |v73|, v48                          // 000000009568: D1D30330 04C29348
	v_max3_f32 v48, |v74|, |v75|, v48                          // 000000009570: D1D30330 04C2974A
	v_max3_f32 v48, |v76|, |v77|, v48                          // 000000009578: D1D30330 04C29B4C
	v_max3_f32 v48, |v78|, |v79|, v48                          // 000000009580: D1D30330 04C29F4E
	s_nop 2                                                    // 000000009588: BF800002
	v_rcp_f32_e32 v48, v48                                     // 00000000958C: 7E604530
	s_nop 1                                                    // 000000009590: BF800001
	v_mul_f32_e32 v48, 0x42fe0000, v48                         // 000000009594: 0A6060FF 42FE0000
	v_mul_f32_e32 v128, v48, v240                              // 00000000959C: 0B01E130
	v_mul_f32_e32 v129, v48, v241                              // 0000000095A0: 0B03E330
	v_mul_f32_e32 v130, v48, v242                              // 0000000095A4: 0B05E530
	v_mul_f32_e32 v131, v48, v243                              // 0000000095A8: 0B07E730
	v_mul_f32_e32 v132, v48, v244                              // 0000000095AC: 0B09E930
	v_mul_f32_e32 v133, v48, v245                              // 0000000095B0: 0B0BEB30
	v_mul_f32_e32 v134, v48, v246                              // 0000000095B4: 0B0DED30
	v_mul_f32_e32 v135, v48, v247                              // 0000000095B8: 0B0FEF30
	v_mul_f32_e32 v136, v48, v248                              // 0000000095BC: 0B11F130
	v_mul_f32_e32 v137, v48, v249                              // 0000000095C0: 0B13F330
	v_mul_f32_e32 v138, v48, v250                              // 0000000095C4: 0B15F530
	v_mul_f32_e32 v139, v48, v251                              // 0000000095C8: 0B17F730
	v_mul_f32_e32 v140, v48, v252                              // 0000000095CC: 0B19F930
	v_mul_f32_e32 v141, v48, v253                              // 0000000095D0: 0B1BFB30
	v_mul_f32_e32 v142, v48, v254                              // 0000000095D4: 0B1DFD30
	v_mul_f32_e32 v143, v48, v255                              // 0000000095D8: 0B1FFF30
	v_cvt_i32_f32_e32 v128, v128                               // 0000000095DC: 7F001180
	v_cvt_i32_f32_e32 v129, v129                               // 0000000095E0: 7F021181
	v_cvt_i32_f32_e32 v130, v130                               // 0000000095E4: 7F041182
	v_cvt_i32_f32_e32 v131, v131                               // 0000000095E8: 7F061183
	v_cvt_i32_f32_e32 v132, v132                               // 0000000095EC: 7F081184
	v_cvt_i32_f32_e32 v133, v133                               // 0000000095F0: 7F0A1185
	v_cvt_i32_f32_e32 v134, v134                               // 0000000095F4: 7F0C1186
	v_cvt_i32_f32_e32 v135, v135                               // 0000000095F8: 7F0E1187
	v_cvt_i32_f32_e32 v136, v136                               // 0000000095FC: 7F101188
	v_cvt_i32_f32_e32 v137, v137                               // 000000009600: 7F121189
	v_cvt_i32_f32_e32 v138, v138                               // 000000009604: 7F14118A
	v_cvt_i32_f32_e32 v139, v139                               // 000000009608: 7F16118B
	v_cvt_i32_f32_e32 v140, v140                               // 00000000960C: 7F18118C
	v_cvt_i32_f32_e32 v141, v141                               // 000000009610: 7F1A118D
	v_cvt_i32_f32_e32 v142, v142                               // 000000009614: 7F1C118E
	v_cvt_i32_f32_e32 v143, v143                               // 000000009618: 7F1E118F
	v_perm_b32 v128, v129, v128, s53                           // 00000000961C: D1ED0080 00D70181
	v_perm_b32 v128, v130, v128, s54                           // 000000009624: D1ED0080 00DB0182
	v_perm_b32 v128, v131, v128, s55                           // 00000000962C: D1ED0080 00DF0183
	v_perm_b32 v129, v133, v132, s53                           // 000000009634: D1ED0081 00D70985
	v_perm_b32 v129, v134, v129, s54                           // 00000000963C: D1ED0081 00DB0386
	v_perm_b32 v129, v135, v129, s55                           // 000000009644: D1ED0081 00DF0387
	v_perm_b32 v130, v137, v136, s53                           // 00000000964C: D1ED0082 00D71189
	v_perm_b32 v130, v138, v130, s54                           // 000000009654: D1ED0082 00DB058A
	v_perm_b32 v130, v139, v130, s55                           // 00000000965C: D1ED0082 00DF058B
	v_perm_b32 v131, v141, v140, s53                           // 000000009664: D1ED0083 00D7198D
	v_perm_b32 v131, v142, v131, s54                           // 00000000966C: D1ED0083 00DB078E
	v_perm_b32 v131, v143, v131, s55                           // 000000009674: D1ED0083 00DF078F
	ds_write_b32 v10, v128 offset:29184                        // 00000000967C: D81A7200 0000800A
	ds_write_b32 v10, v129 offset:30208                        // 000000009684: D81A7600 0000810A
	ds_write_b32 v10, v130 offset:31232                        // 00000000968C: D81A7A00 0000820A
	ds_write_b32 v10, v131 offset:32256                        // 000000009694: D81A7E00 0000830A
	v_add_f32_e32 v216, v216, v184                             // 00000000969C: 03B171D8
	v_add_f32_e32 v217, v217, v185                             // 0000000096A0: 03B373D9
	v_add_f32_e32 v218, v218, v186                             // 0000000096A4: 03B575DA
	v_add_f32_e32 v219, v219, v187                             // 0000000096A8: 03B777DB
	v_add_f32_e32 v220, v220, v188                             // 0000000096AC: 03B979DC
	v_add_f32_e32 v221, v221, v189                             // 0000000096B0: 03BB7BDD
	v_add_f32_e32 v222, v222, v190                             // 0000000096B4: 03BD7DDE
	v_add_f32_e32 v223, v223, v191                             // 0000000096B8: 03BF7FDF
	v_rcp_f32_e32 v45, v48                                     // 0000000096BC: 7E5A4530
	s_waitcnt lgkmcnt(0)                                       // 0000000096C0: BF8CC07F
	s_barrier                                                  // 0000000096C4: BF8A0000
	ds_read_b64 v[128:129], v9 offset:29184                    // 0000000096C8: D8EC7200 80000009
	ds_read_b64 v[130:131], v9 offset:29312                    // 0000000096D0: D8EC7280 82000009
	ds_read_b64 v[132:133], v9 offset:30208                    // 0000000096D8: D8EC7600 84000009
	ds_read_b64 v[134:135], v9 offset:30336                    // 0000000096E0: D8EC7680 86000009
	ds_read_b64 v[136:137], v9 offset:31232                    // 0000000096E8: D8EC7A00 88000009
	ds_read_b64 v[138:139], v9 offset:31360                    // 0000000096F0: D8EC7A80 8A000009
	ds_read_b64 v[140:141], v9 offset:32256                    // 0000000096F8: D8EC7E00 8C000009
	ds_read_b64 v[142:143], v9 offset:32384                    // 000000009700: D8EC7E80 8E000009
	s_waitcnt vmcnt(15)                                        // 000000009708: BF8C0F7F
	v_mfma_i32_16x16x32_i8 v[176:179], a[96:97], v[112:113], 0 // 00000000970C: D3D700B0 0A02E160
	v_mfma_i32_16x16x32_i8 v[176:179], a[98:99], v[114:115], v[176:179]// 000000009714: D3D700B0 0EC2E562
	buffer_load_dwordx4 a[80:83], v30, s[20:23], 0 offen offset:1024// 00000000971C: E05C1400 8085501E
	v_mfma_i32_16x16x32_i8 v[176:179], a[100:101], v[116:117], v[176:179]// 000000009724: D3D700B0 0EC2E964
	v_mfma_i32_16x16x32_i8 v[176:179], a[102:103], v[118:119], v[176:179]// 00000000972C: D3D700B0 0EC2ED66
	v_mfma_i32_16x16x32_i8 v[176:179], a[104:105], v[120:121], v[176:179]// 000000009734: D3D700B0 0EC2F168
	v_mfma_i32_16x16x32_i8 v[176:179], a[106:107], v[122:123], v[176:179]// 00000000973C: D3D700B0 0EC2F56A
	buffer_load_dwordx4 a[84:87], v31, s[20:23], 0 offen offset:1024// 000000009744: E05C1400 8085541F
	v_mfma_i32_16x16x32_i8 v[176:179], a[108:109], v[124:125], v[176:179]// 00000000974C: D3D700B0 0EC2F96C
	v_mfma_i32_16x16x32_i8 v[176:179], a[110:111], v[126:127], v[176:179]// 000000009754: D3D700B0 0EC2FD6E
	v_mfma_i32_16x16x32_i8 v[180:183], a[112:113], v[112:113], 0// 00000000975C: D3D700B4 0A02E170
	v_mfma_i32_16x16x32_i8 v[180:183], a[114:115], v[114:115], v[180:183]// 000000009764: D3D700B4 0ED2E572
	buffer_load_dwordx4 a[88:91], v32, s[20:23], 0 offen offset:1024// 00000000976C: E05C1400 80855820
	v_mfma_i32_16x16x32_i8 v[180:183], a[116:117], v[116:117], v[180:183]// 000000009774: D3D700B4 0ED2E974
	v_mfma_i32_16x16x32_i8 v[180:183], a[118:119], v[118:119], v[180:183]// 00000000977C: D3D700B4 0ED2ED76
	v_mfma_i32_16x16x32_i8 v[180:183], a[120:121], v[120:121], v[180:183]// 000000009784: D3D700B4 0ED2F178
	v_mfma_i32_16x16x32_i8 v[180:183], a[122:123], v[122:123], v[180:183]// 00000000978C: D3D700B4 0ED2F57A
	buffer_load_dwordx4 a[92:95], v33, s[20:23], 0 offen offset:1024// 000000009794: E05C1400 80855C21
	v_mfma_i32_16x16x32_i8 v[180:183], a[124:125], v[124:125], v[180:183]// 00000000979C: D3D700B4 0ED2F97C
	s_lshr_b32 s57, s70, 4                                     // 0000000097A4: 8F398446
	s_add_u32 s57, 48, s57                                     // 0000000097A8: 803939B0
	v_mfma_i32_16x16x32_i8 v[180:183], a[126:127], v[126:127], v[180:183]// 0000000097AC: D3D700B4 0ED2FD7E
	s_cmp_ge_u32 s57, s73                                      // 0000000097B4: BF094939
	s_cselect_b32 s56, 0, s56                                  // 0000000097B8: 85383880
	v_mfma_i32_16x16x32_i8 v[184:187], a[96:97], v[128:129], 0 // 0000000097BC: D3D700B8 0A030160
	v_mfma_i32_16x16x32_i8 v[184:187], a[98:99], v[130:131], v[184:187]// 0000000097C4: D3D700B8 0EE30562
	v_mfma_i32_16x16x32_i8 v[184:187], a[100:101], v[132:133], v[184:187]// 0000000097CC: D3D700B8 0EE30964
	v_mfma_i32_16x16x32_i8 v[184:187], a[102:103], v[134:135], v[184:187]// 0000000097D4: D3D700B8 0EE30D66
	v_mfma_i32_16x16x32_i8 v[184:187], a[104:105], v[136:137], v[184:187]// 0000000097DC: D3D700B8 0EE31168
	v_mfma_i32_16x16x32_i8 v[184:187], a[106:107], v[138:139], v[184:187]// 0000000097E4: D3D700B8 0EE3156A
	v_mfma_i32_16x16x32_i8 v[184:187], a[108:109], v[140:141], v[184:187]// 0000000097EC: D3D700B8 0EE3196C
	v_mfma_i32_16x16x32_i8 v[184:187], a[110:111], v[142:143], v[184:187]// 0000000097F4: D3D700B8 0EE31D6E
	v_mfma_i32_16x16x32_i8 v[188:191], a[112:113], v[128:129], 0// 0000000097FC: D3D700BC 0A030170
	v_mfma_i32_16x16x32_i8 v[188:191], a[114:115], v[130:131], v[188:191]// 000000009804: D3D700BC 0EF30572
	v_mfma_i32_16x16x32_i8 v[188:191], a[116:117], v[132:133], v[188:191]// 00000000980C: D3D700BC 0EF30974
	v_mfma_i32_16x16x32_i8 v[188:191], a[118:119], v[134:135], v[188:191]// 000000009814: D3D700BC 0EF30D76
	v_mfma_i32_16x16x32_i8 v[188:191], a[120:121], v[136:137], v[188:191]// 00000000981C: D3D700BC 0EF31178
	v_mfma_i32_16x16x32_i8 v[188:191], a[122:123], v[138:139], v[188:191]// 000000009824: D3D700BC 0EF3157A
	v_mfma_i32_16x16x32_i8 v[188:191], a[124:125], v[140:141], v[188:191]// 00000000982C: D3D700BC 0EF3197C
	v_mfma_i32_16x16x32_i8 v[188:191], a[126:127], v[142:143], v[188:191]// 000000009834: D3D700BC 0EF31D7E
	v_add_u32_e32 v1, s56, v1                                  // 00000000983C: 68020238
	s_addk_i32 s70, 0x100                                      // 000000009840: B7460100
	s_cmp_lt_i32 s70, s71                                      // 000000009844: BF044746
	s_cbranch_scc0 label_1D94                                  // 000000009848: BF840001
	s_branch label_1457                                        // 00000000984C: BF82F6C3

0000000000009850 <label_1D94>:
	s_nop 0                                                    // 000000009850: BF800000
	s_nop 0                                                    // 000000009854: BF800000
	s_branch label_26D4                                        // 000000009858: BF82093D

000000000000985c <label_1D97>:
	s_waitcnt vmcnt(8) lgkmcnt(0)                              // 00000000985C: BF8C0078
	v_mul_u32_u24_dpp v64, v17, v54 row_newbcast:0 row_mask:0xf bank_mask:0xf// 000000009860: 10806CFA FF015011
	v_mul_u32_u24_dpp v65, v17, v54 row_newbcast:4 row_mask:0xf bank_mask:0xf// 000000009868: 10826CFA FF015411
	v_mul_u32_u24_dpp v66, v17, v54 row_newbcast:8 row_mask:0xf bank_mask:0xf// 000000009870: 10846CFA FF015811
	v_mul_u32_u24_dpp v67, v17, v54 row_newbcast:12 row_mask:0xf bank_mask:0xf// 000000009878: 10866CFA FF015C11
	v_add_u32_e32 v26, v64, v5                                 // 000000009880: 68340B40
	v_add_u32_e32 v27, v65, v5                                 // 000000009884: 68360B41
	v_add_u32_e32 v28, v66, v5                                 // 000000009888: 68380B42
	v_add_u32_e32 v29, v67, v5                                 // 00000000988C: 683A0B43
	v_mul_u32_u24_dpp v64, v17, v63 quad_perm:[0,0,0,0] row_mask:0xf bank_mask:0xf// 000000009890: 10807EFA FF000011
	v_add_u32_e32 v3, v64, v59                                 // 000000009898: 68067740
	v_mul_u32_u24_dpp v64, v17, v63 quad_perm:[0,0,0,0] row_mask:0xf bank_mask:0xf// 00000000989C: 10807EFA FF000011
	v_add_u32_e32 v56, v64, v60                                // 0000000098A4: 68707940
	v_mfma_i32_16x16x32_i8 v[112:115], a[0:1], v[80:81], 0     // 0000000098A8: D3D70070 0A02A100
	buffer_load_dwordx4 a[32:35], v26, s[16:19], 0 offen       // 0000000098B0: E05C1000 8084201A
	v_mfma_i32_16x16x32_i8 v[112:115], a[2:3], v[82:83], v[112:115]// 0000000098B8: D3D70070 0DC2A502
	v_mfma_i32_16x16x32_i8 v[112:115], a[4:5], v[84:85], v[112:115]// 0000000098C0: D3D70070 0DC2A904
	buffer_load_dword v16, v1, s[24:27], 0 offen               // 0000000098C8: E0501000 80061001
	v_mfma_i32_16x16x32_i8 v[112:115], a[6:7], v[86:87], v[112:115]// 0000000098D0: D3D70070 0DC2AD06
	v_mfma_i32_16x16x32_i8 v[116:119], a[8:9], v[80:81], 0     // 0000000098D8: D3D70074 0A02A108
	buffer_load_dwordx4 a[36:39], v26, s[16:19], 0 offen offset:1024// 0000000098E0: E05C1400 8084241A
	v_mfma_i32_16x16x32_i8 v[116:119], a[10:11], v[82:83], v[116:119]// 0000000098E8: D3D70074 0DD2A50A
	v_mfma_i32_16x16x32_i8 v[116:119], a[12:13], v[84:85], v[116:119]// 0000000098F0: D3D70074 0DD2A90C
	v_mfma_i32_16x16x32_i8 v[116:119], a[14:15], v[86:87], v[116:119]// 0000000098F8: D3D70074 0DD2AD0E
	v_mfma_i32_16x16x32_i8 v[120:123], a[16:17], v[80:81], 0   // 000000009900: D3D70078 0A02A110
	buffer_load_dwordx4 a[40:43], v27, s[16:19], 0 offen       // 000000009908: E05C1000 8084281B
	v_mfma_i32_16x16x32_i8 v[120:123], a[18:19], v[82:83], v[120:123]// 000000009910: D3D70078 0DE2A512
	v_mfma_i32_16x16x32_i8 v[120:123], a[20:21], v[84:85], v[120:123]// 000000009918: D3D70078 0DE2A914
	v_mfma_i32_16x16x32_i8 v[120:123], a[22:23], v[86:87], v[120:123]// 000000009920: D3D70078 0DE2AD16
	v_mfma_i32_16x16x32_i8 v[124:127], a[24:25], v[80:81], 0   // 000000009928: D3D7007C 0A02A118
	buffer_load_dwordx4 a[44:47], v27, s[16:19], 0 offen offset:1024// 000000009930: E05C1400 80842C1B
	v_mfma_i32_16x16x32_i8 v[124:127], a[26:27], v[82:83], v[124:127]// 000000009938: D3D7007C 0DF2A51A
	v_mfma_i32_16x16x32_i8 v[124:127], a[28:29], v[84:85], v[124:127]// 000000009940: D3D7007C 0DF2A91C
	v_mfma_i32_16x16x32_i8 v[124:127], a[30:31], v[86:87], v[124:127]// 000000009948: D3D7007C 0DF2AD1E
	v_mfma_i32_16x16x32_i8 v[128:131], a[0:1], v[88:89], 0     // 000000009950: D3D70080 0A02B100
	v_mfma_i32_16x16x32_i8 v[128:131], a[2:3], v[90:91], v[128:131]// 000000009958: D3D70080 0E02B502
	v_mfma_i32_16x16x32_i8 v[128:131], a[4:5], v[92:93], v[128:131]// 000000009960: D3D70080 0E02B904
	v_mfma_i32_16x16x32_i8 v[128:131], a[6:7], v[94:95], v[128:131]// 000000009968: D3D70080 0E02BD06
	v_mfma_i32_16x16x32_i8 v[132:135], a[8:9], v[88:89], 0     // 000000009970: D3D70084 0A02B108
	v_mfma_i32_16x16x32_i8 v[132:135], a[10:11], v[90:91], v[132:135]// 000000009978: D3D70084 0E12B50A
	v_mfma_i32_16x16x32_i8 v[132:135], a[12:13], v[92:93], v[132:135]// 000000009980: D3D70084 0E12B90C
	v_mfma_i32_16x16x32_i8 v[132:135], a[14:15], v[94:95], v[132:135]// 000000009988: D3D70084 0E12BD0E
	v_mfma_i32_16x16x32_i8 v[136:139], a[16:17], v[88:89], 0   // 000000009990: D3D70088 0A02B110
	v_mfma_i32_16x16x32_i8 v[136:139], a[18:19], v[90:91], v[136:139]// 000000009998: D3D70088 0E22B512
	v_mfma_i32_16x16x32_i8 v[136:139], a[20:21], v[92:93], v[136:139]// 0000000099A0: D3D70088 0E22B914
	v_mfma_i32_16x16x32_i8 v[136:139], a[22:23], v[94:95], v[136:139]// 0000000099A8: D3D70088 0E22BD16
	v_mfma_i32_16x16x32_i8 v[140:143], a[24:25], v[88:89], 0   // 0000000099B0: D3D7008C 0A02B118
	v_mfma_i32_16x16x32_i8 v[140:143], a[26:27], v[90:91], v[140:143]// 0000000099B8: D3D7008C 0E32B51A
	v_mfma_i32_16x16x32_i8 v[140:143], a[28:29], v[92:93], v[140:143]// 0000000099C0: D3D7008C 0E32B91C
	v_mfma_i32_16x16x32_i8 v[140:143], a[30:31], v[94:95], v[140:143]// 0000000099C8: D3D7008C 0E32BD1E
	buffer_load_dword v43, v3, s[32:35], 0 offen               // 0000000099D0: E0501000 80082B03
	v_mov_b32_dpp v64, v42 row_shr:4 row_mask:0xf bank_mask:0xf// 0000000099D8: 7E8002FA FF01142A
	v_mov_b32_dpp v65, v42 row_shl:4 row_mask:0xf bank_mask:0xf// 0000000099E0: 7E8202FA FF01042A
	v_cndmask_b32_e64 v248, v42, v64, s[44:45]                 // 0000000099E8: D10000F8 00B2812A
	v_cndmask_b32_e64 v249, v65, v42, s[44:45]                 // 0000000099F0: D10000F9 00B25541
	v_mov_b32_dpp v64, v248 row_shr:8 row_mask:0xf bank_mask:0xf// 0000000099F8: 7E8002FA FF0118F8
	v_mov_b32_dpp v65, v248 row_shl:8 row_mask:0xf bank_mask:0xf// 000000009A00: 7E8202FA FF0108F8
	v_mov_b32_dpp v66, v249 row_shr:8 row_mask:0xf bank_mask:0xf// 000000009A08: 7E8402FA FF0118F9
	v_mov_b32_dpp v67, v249 row_shl:8 row_mask:0xf bank_mask:0xf// 000000009A10: 7E8602FA FF0108F9
	v_mov_b32_e32 v68, v248                                    // 000000009A18: 7E8803F8
	v_mov_b32_e32 v69, v249                                    // 000000009A1C: 7E8A03F9
	v_cndmask_b32_e64 v248, v68, v64, s[42:43]                 // 000000009A20: D10000F8 00AA8144
	v_cndmask_b32_e64 v250, v68, v65, s[78:79]                 // 000000009A28: D10000FA 013A8344
	v_cndmask_b32_e64 v249, v69, v66, s[42:43]                 // 000000009A30: D10000F9 00AA8545
	v_cndmask_b32_e64 v251, v69, v67, s[78:79]                 // 000000009A38: D10000FB 013A8745
	v_mov_b32_dpp v64, v57 row_shr:4 row_mask:0xf bank_mask:0xf// 000000009A40: 7E8002FA FF011439
	v_mov_b32_dpp v65, v57 row_shl:4 row_mask:0xf bank_mask:0xf// 000000009A48: 7E8202FA FF010439
	v_cndmask_b32_e64 v252, v57, v64, s[44:45]                 // 000000009A50: D10000FC 00B28139
	v_cndmask_b32_e64 v253, v65, v57, s[44:45]                 // 000000009A58: D10000FD 00B27341
	v_mov_b32_dpp v64, v252 row_shr:8 row_mask:0xf bank_mask:0xf// 000000009A60: 7E8002FA FF0118FC
	v_mov_b32_dpp v65, v252 row_shl:8 row_mask:0xf bank_mask:0xf// 000000009A68: 7E8202FA FF0108FC
	v_mov_b32_dpp v66, v253 row_shr:8 row_mask:0xf bank_mask:0xf// 000000009A70: 7E8402FA FF0118FD
	v_mov_b32_dpp v67, v253 row_shl:8 row_mask:0xf bank_mask:0xf// 000000009A78: 7E8602FA FF0108FD
	v_mov_b32_e32 v68, v252                                    // 000000009A80: 7E8803FC
	v_mov_b32_e32 v69, v253                                    // 000000009A84: 7E8A03FD
	v_cndmask_b32_e64 v252, v68, v64, s[42:43]                 // 000000009A88: D10000FC 00AA8144
	v_cndmask_b32_e64 v254, v68, v65, s[78:79]                 // 000000009A90: D10000FE 013A8344
	v_cndmask_b32_e64 v253, v69, v66, s[42:43]                 // 000000009A98: D10000FD 00AA8545
	v_cndmask_b32_e64 v255, v69, v67, s[78:79]                 // 000000009AA0: D10000FF 013A8745
	buffer_load_dword v58, v56, s[36:39], 0 offen              // 000000009AA8: E0501000 80093A38
	v_cvt_f32_i32_e32 v112, v112                               // 000000009AB0: 7EE00B70
	v_cvt_f32_i32_e32 v113, v113                               // 000000009AB4: 7EE20B71
	v_cvt_f32_i32_e32 v114, v114                               // 000000009AB8: 7EE40B72
	v_cvt_f32_i32_e32 v115, v115                               // 000000009ABC: 7EE60B73
	v_cvt_f32_i32_e32 v116, v116                               // 000000009AC0: 7EE80B74
	v_cvt_f32_i32_e32 v117, v117                               // 000000009AC4: 7EEA0B75
	v_cvt_f32_i32_e32 v118, v118                               // 000000009AC8: 7EEC0B76
	v_cvt_f32_i32_e32 v119, v119                               // 000000009ACC: 7EEE0B77
	v_cvt_f32_i32_e32 v120, v120                               // 000000009AD0: 7EF00B78
	v_cvt_f32_i32_e32 v121, v121                               // 000000009AD4: 7EF20B79
	v_cvt_f32_i32_e32 v122, v122                               // 000000009AD8: 7EF40B7A
	v_cvt_f32_i32_e32 v123, v123                               // 000000009ADC: 7EF60B7B
	v_cvt_f32_i32_e32 v124, v124                               // 000000009AE0: 7EF80B7C
	v_cvt_f32_i32_e32 v125, v125                               // 000000009AE4: 7EFA0B7D
	v_cvt_f32_i32_e32 v126, v126                               // 000000009AE8: 7EFC0B7E
	v_cvt_f32_i32_e32 v127, v127                               // 000000009AEC: 7EFE0B7F
	v_mul_f32_e32 v112, v18, v112                              // 000000009AF0: 0AE0E112
	v_mul_f32_e32 v113, v18, v113                              // 000000009AF4: 0AE2E312
	v_mul_f32_e32 v114, v18, v114                              // 000000009AF8: 0AE4E512
	v_mul_f32_e32 v115, v18, v115                              // 000000009AFC: 0AE6E712
	v_mul_f32_e32 v116, v18, v116                              // 000000009B00: 0AE8E912
	v_mul_f32_e32 v117, v18, v117                              // 000000009B04: 0AEAEB12
	v_mul_f32_e32 v118, v18, v118                              // 000000009B08: 0AECED12
	v_mul_f32_e32 v119, v18, v119                              // 000000009B0C: 0AEEEF12
	v_mul_f32_e32 v120, v18, v120                              // 000000009B10: 0AF0F112
	v_mul_f32_e32 v121, v18, v121                              // 000000009B14: 0AF2F312
	v_mul_f32_e32 v122, v18, v122                              // 000000009B18: 0AF4F512
	v_mul_f32_e32 v123, v18, v123                              // 000000009B1C: 0AF6F712
	v_mul_f32_e32 v124, v18, v124                              // 000000009B20: 0AF8F912
	v_mul_f32_e32 v125, v18, v125                              // 000000009B24: 0AFAFB12
	v_mul_f32_e32 v126, v18, v126                              // 000000009B28: 0AFCFD12
	v_mul_f32_e32 v127, v18, v127                              // 000000009B2C: 0AFEFF12
	buffer_load_dwordx4 a[48:51], v28, s[16:19], 0 offen       // 000000009B30: E05C1000 8084301C
	v_mul_f32_dpp v112, v248, v112 quad_perm:[0,0,0,0] row_mask:0xf bank_mask:0xf// 000000009B38: 0AE0E0FA FF0000F8
	v_mul_f32_dpp v113, v248, v113 quad_perm:[1,1,1,1] row_mask:0xf bank_mask:0xf// 000000009B40: 0AE2E2FA FF0055F8
	v_mul_f32_dpp v114, v248, v114 quad_perm:[2,2,2,2] row_mask:0xf bank_mask:0xf// 000000009B48: 0AE4E4FA FF00AAF8
	v_mul_f32_dpp v115, v248, v115 quad_perm:[3,3,3,3] row_mask:0xf bank_mask:0xf// 000000009B50: 0AE6E6FA FF00FFF8
	v_mul_f32_dpp v116, v249, v116 quad_perm:[0,0,0,0] row_mask:0xf bank_mask:0xf// 000000009B58: 0AE8E8FA FF0000F9
	v_mul_f32_dpp v117, v249, v117 quad_perm:[1,1,1,1] row_mask:0xf bank_mask:0xf// 000000009B60: 0AEAEAFA FF0055F9
	v_mul_f32_dpp v118, v249, v118 quad_perm:[2,2,2,2] row_mask:0xf bank_mask:0xf// 000000009B68: 0AECECFA FF00AAF9
	v_mul_f32_dpp v119, v249, v119 quad_perm:[3,3,3,3] row_mask:0xf bank_mask:0xf// 000000009B70: 0AEEEEFA FF00FFF9
	v_mul_f32_dpp v120, v250, v120 quad_perm:[0,0,0,0] row_mask:0xf bank_mask:0xf// 000000009B78: 0AF0F0FA FF0000FA
	v_mul_f32_dpp v121, v250, v121 quad_perm:[1,1,1,1] row_mask:0xf bank_mask:0xf// 000000009B80: 0AF2F2FA FF0055FA
	v_mul_f32_dpp v122, v250, v122 quad_perm:[2,2,2,2] row_mask:0xf bank_mask:0xf// 000000009B88: 0AF4F4FA FF00AAFA
	v_mul_f32_dpp v123, v250, v123 quad_perm:[3,3,3,3] row_mask:0xf bank_mask:0xf// 000000009B90: 0AF6F6FA FF00FFFA
	v_mul_f32_dpp v124, v251, v124 quad_perm:[0,0,0,0] row_mask:0xf bank_mask:0xf// 000000009B98: 0AF8F8FA FF0000FB
	v_mul_f32_dpp v125, v251, v125 quad_perm:[1,1,1,1] row_mask:0xf bank_mask:0xf// 000000009BA0: 0AFAFAFA FF0055FB
	v_mul_f32_dpp v126, v251, v126 quad_perm:[2,2,2,2] row_mask:0xf bank_mask:0xf// 000000009BA8: 0AFCFCFA FF00AAFB
	v_mul_f32_dpp v127, v251, v127 quad_perm:[3,3,3,3] row_mask:0xf bank_mask:0xf// 000000009BB0: 0AFEFEFA FF00FFFB
	buffer_load_dwordx4 a[52:55], v28, s[16:19], 0 offen offset:1024// 000000009BB8: E05C1400 8084341C
	v_mov_b32_e32 v48, v112                                    // 000000009BC0: 7E600370
	v_max3_f32 v48, v112, v113, v48                            // 000000009BC4: D1D30030 04C2E370
	v_max3_f32 v48, v114, v115, v48                            // 000000009BCC: D1D30030 04C2E772
	v_max3_f32 v48, v116, v117, v48                            // 000000009BD4: D1D30030 04C2EB74
	v_max3_f32 v48, v118, v119, v48                            // 000000009BDC: D1D30030 04C2EF76
	v_max3_f32 v48, v120, v121, v48                            // 000000009BE4: D1D30030 04C2F378
	v_max3_f32 v48, v122, v123, v48                            // 000000009BEC: D1D30030 04C2F77A
	v_max3_f32 v48, v124, v125, v48                            // 000000009BF4: D1D30030 04C2FB7C
	v_max3_f32 v48, v126, v127, v48                            // 000000009BFC: D1D30030 04C2FF7E
	ds_write_b32 v8, v48 offset:16896                          // 000000009C04: D81A4200 00003008
	buffer_load_dwordx4 a[56:59], v29, s[16:19], 0 offen       // 000000009C0C: E05C1000 8084381D
	v_mul_u32_u24_dpp v64, v17, v54 row_newbcast:1 row_mask:0xf bank_mask:0xf// 000000009C14: 10806CFA FF015111
	v_mul_u32_u24_dpp v65, v17, v54 row_newbcast:5 row_mask:0xf bank_mask:0xf// 000000009C1C: 10826CFA FF015511
	v_mul_u32_u24_dpp v66, v17, v54 row_newbcast:9 row_mask:0xf bank_mask:0xf// 000000009C24: 10846CFA FF015911
	v_mul_u32_u24_dpp v67, v17, v54 row_newbcast:13 row_mask:0xf bank_mask:0xf// 000000009C2C: 10866CFA FF015D11
	v_add_u32_e32 v34, v64, v6                                 // 000000009C34: 68440D40
	v_add_u32_e32 v35, v65, v6                                 // 000000009C38: 68460D41
	v_add_u32_e32 v36, v66, v6                                 // 000000009C3C: 68480D42
	v_add_u32_e32 v37, v67, v6                                 // 000000009C40: 684A0D43
	v_mul_f32_e32 v208, v49, v208                              // 000000009C44: 0BA1A131
	v_mul_f32_e32 v209, v49, v209                              // 000000009C48: 0BA3A331
	v_mul_f32_e32 v210, v49, v210                              // 000000009C4C: 0BA5A531
	v_mul_f32_e32 v211, v49, v211                              // 000000009C50: 0BA7A731
	v_mul_f32_e32 v212, v49, v212                              // 000000009C54: 0BA9A931
	v_mul_f32_e32 v213, v49, v213                              // 000000009C58: 0BABAB31
	v_mul_f32_e32 v214, v49, v214                              // 000000009C5C: 0BADAD31
	v_mul_f32_e32 v215, v49, v215                              // 000000009C60: 0BAFAF31
	s_waitcnt lgkmcnt(0)                                       // 000000009C64: BF8CC07F
	s_barrier                                                  // 000000009C68: BF8A0000
	ds_read_b32 v64, v7 offset:16896                           // 000000009C6C: D86C4200 40000007
	ds_read_b32 v65, v7 offset:16960                           // 000000009C74: D86C4240 41000007
	ds_read_b32 v66, v7 offset:17024                           // 000000009C7C: D86C4280 42000007
	ds_read_b32 v67, v7 offset:17088                           // 000000009C84: D86C42C0 43000007
	ds_read_b32 v68, v7 offset:17152                           // 000000009C8C: D86C4300 44000007
	ds_read_b32 v69, v7 offset:17216                           // 000000009C94: D86C4340 45000007
	ds_read_b32 v70, v7 offset:17280                           // 000000009C9C: D86C4380 46000007
	ds_read_b32 v71, v7 offset:17344                           // 000000009CA4: D86C43C0 47000007
	ds_read_b32 v72, v7 offset:17408                           // 000000009CAC: D86C4400 48000007
	ds_read_b32 v73, v7 offset:17472                           // 000000009CB4: D86C4440 49000007
	ds_read_b32 v74, v7 offset:17536                           // 000000009CBC: D86C4480 4A000007
	ds_read_b32 v75, v7 offset:17600                           // 000000009CC4: D86C44C0 4B000007
	ds_read_b32 v76, v7 offset:17664                           // 000000009CCC: D86C4500 4C000007
	ds_read_b32 v77, v7 offset:17728                           // 000000009CD4: D86C4540 4D000007
	ds_read_b32 v78, v7 offset:17792                           // 000000009CDC: D86C4580 4E000007
	ds_read_b32 v79, v7 offset:17856                           // 000000009CE4: D86C45C0 4F000007
	buffer_load_dwordx4 a[60:63], v29, s[16:19], 0 offen offset:1024// 000000009CEC: E05C1400 80843C1D
	v_cvt_f32_i32_e32 v176, v176                               // 000000009CF4: 7F600BB0
	v_cvt_f32_i32_e32 v177, v177                               // 000000009CF8: 7F620BB1
	v_cvt_f32_i32_e32 v178, v178                               // 000000009CFC: 7F640BB2
	v_cvt_f32_i32_e32 v179, v179                               // 000000009D00: 7F660BB3
	v_cvt_f32_i32_e32 v180, v180                               // 000000009D04: 7F680BB4
	v_cvt_f32_i32_e32 v181, v181                               // 000000009D08: 7F6A0BB5
	v_cvt_f32_i32_e32 v182, v182                               // 000000009D0C: 7F6C0BB6
	v_cvt_f32_i32_e32 v183, v183                               // 000000009D10: 7F6E0BB7
	v_mul_f32_e32 v176, v44, v176                              // 000000009D14: 0B61612C
	v_mul_f32_e32 v177, v44, v177                              // 000000009D18: 0B63632C
	v_mul_f32_e32 v178, v44, v178                              // 000000009D1C: 0B65652C
	v_mul_f32_e32 v179, v44, v179                              // 000000009D20: 0B67672C
	v_mul_f32_e32 v180, v44, v180                              // 000000009D24: 0B69692C
	v_mul_f32_e32 v181, v44, v181                              // 000000009D28: 0B6B6B2C
	v_mul_f32_e32 v182, v44, v182                              // 000000009D2C: 0B6D6D2C
	v_mul_f32_e32 v183, v44, v183                              // 000000009D30: 0B6F6F2C
	s_waitcnt lgkmcnt(0)                                       // 000000009D34: BF8CC07F
	v_max3_f32 v48, v64, v65, v48                              // 000000009D38: D1D30030 04C28340
	v_max3_f32 v48, v66, v67, v48                              // 000000009D40: D1D30030 04C28742
	v_max3_f32 v48, v68, v69, v48                              // 000000009D48: D1D30030 04C28B44
	v_max3_f32 v48, v70, v71, v48                              // 000000009D50: D1D30030 04C28F46
	v_max3_f32 v48, v72, v73, v48                              // 000000009D58: D1D30030 04C29348
	v_max3_f32 v48, v74, v75, v48                              // 000000009D60: D1D30030 04C2974A
	v_max3_f32 v48, v76, v77, v48                              // 000000009D68: D1D30030 04C29B4C
	v_max3_f32 v48, v78, v79, v48                              // 000000009D70: D1D30030 04C29F4E
	buffer_load_dwordx4 a[96:99], v34, s[20:23], 0 offen       // 000000009D78: E05C1000 80856022
	v_mov_b32_e32 v64, 0xff800000                              // 000000009D80: 7E8002FF FF800000
	v_cmp_eq_u32_e64 s[40:41], v64, v11                        // 000000009D88: D0CA0028 00021740
	s_nop 1                                                    // 000000009D90: BF800001
	v_max_f32_e32 v15, v48, v11                                // 000000009D94: 161E1730
	v_mul_f32_e32 v53, s64, v15                                // 000000009D98: 0A6A1E40
	v_fma_f32 v112, v112, s64, -v53                            // 000000009D9C: D1CB0070 84D48170
	v_fma_f32 v113, v113, s64, -v53                            // 000000009DA4: D1CB0071 84D48171
	v_fma_f32 v114, v114, s64, -v53                            // 000000009DAC: D1CB0072 84D48172
	v_fma_f32 v115, v115, s64, -v53                            // 000000009DB4: D1CB0073 84D48173
	v_fma_f32 v116, v116, s64, -v53                            // 000000009DBC: D1CB0074 84D48174
	v_fma_f32 v117, v117, s64, -v53                            // 000000009DC4: D1CB0075 84D48175
	v_fma_f32 v118, v118, s64, -v53                            // 000000009DCC: D1CB0076 84D48176
	v_fma_f32 v119, v119, s64, -v53                            // 000000009DD4: D1CB0077 84D48177
	v_fma_f32 v120, v120, s64, -v53                            // 000000009DDC: D1CB0078 84D48178
	v_fma_f32 v121, v121, s64, -v53                            // 000000009DE4: D1CB0079 84D48179
	v_fma_f32 v122, v122, s64, -v53                            // 000000009DEC: D1CB007A 84D4817A
	v_fma_f32 v123, v123, s64, -v53                            // 000000009DF4: D1CB007B 84D4817B
	v_fma_f32 v124, v124, s64, -v53                            // 000000009DFC: D1CB007C 84D4817C
	v_fma_f32 v125, v125, s64, -v53                            // 000000009E04: D1CB007D 84D4817D
	v_fma_f32 v126, v126, s64, -v53                            // 000000009E0C: D1CB007E 84D4817E
	v_fma_f32 v127, v127, s64, -v53                            // 000000009E14: D1CB007F 84D4817F
	buffer_load_dwordx4 a[100:103], v35, s[20:23], 0 offen     // 000000009E1C: E05C1000 80856423
	v_exp_f32_e32 v112, v112                                   // 000000009E24: 7EE04170
	v_exp_f32_e32 v113, v113                                   // 000000009E28: 7EE24171
	v_exp_f32_e32 v114, v114                                   // 000000009E2C: 7EE44172
	v_exp_f32_e32 v115, v115                                   // 000000009E30: 7EE64173
	v_exp_f32_e32 v116, v116                                   // 000000009E34: 7EE84174
	v_exp_f32_e32 v117, v117                                   // 000000009E38: 7EEA4175
	v_exp_f32_e32 v118, v118                                   // 000000009E3C: 7EEC4176
	v_exp_f32_e32 v119, v119                                   // 000000009E40: 7EEE4177
	v_exp_f32_e32 v120, v120                                   // 000000009E44: 7EF04178
	v_exp_f32_e32 v121, v121                                   // 000000009E48: 7EF24179
	v_exp_f32_e32 v122, v122                                   // 000000009E4C: 7EF4417A
	v_exp_f32_e32 v123, v123                                   // 000000009E50: 7EF6417B
	v_exp_f32_e32 v124, v124                                   // 000000009E54: 7EF8417C
	v_exp_f32_e32 v125, v125                                   // 000000009E58: 7EFA417D
	v_exp_f32_e32 v126, v126                                   // 000000009E5C: 7EFC417E
	v_exp_f32_e32 v127, v127                                   // 000000009E60: 7EFE417F
	buffer_load_dwordx4 a[104:107], v36, s[20:23], 0 offen     // 000000009E64: E05C1000 80856824
	v_mul_f32_dpp v240, v252, v112 quad_perm:[0,0,0,0] row_mask:0xf bank_mask:0xf// 000000009E6C: 0BE0E0FA FF0000FC
	v_mul_f32_dpp v241, v252, v113 quad_perm:[1,1,1,1] row_mask:0xf bank_mask:0xf// 000000009E74: 0BE2E2FA FF0055FC
	v_mul_f32_dpp v242, v252, v114 quad_perm:[2,2,2,2] row_mask:0xf bank_mask:0xf// 000000009E7C: 0BE4E4FA FF00AAFC
	v_mul_f32_dpp v243, v252, v115 quad_perm:[3,3,3,3] row_mask:0xf bank_mask:0xf// 000000009E84: 0BE6E6FA FF00FFFC
	v_mul_f32_dpp v244, v253, v116 quad_perm:[0,0,0,0] row_mask:0xf bank_mask:0xf// 000000009E8C: 0BE8E8FA FF0000FD
	v_mul_f32_dpp v245, v253, v117 quad_perm:[1,1,1,1] row_mask:0xf bank_mask:0xf// 000000009E94: 0BEAEAFA FF0055FD
	v_mul_f32_dpp v246, v253, v118 quad_perm:[2,2,2,2] row_mask:0xf bank_mask:0xf// 000000009E9C: 0BECECFA FF00AAFD
	v_mul_f32_dpp v247, v253, v119 quad_perm:[3,3,3,3] row_mask:0xf bank_mask:0xf// 000000009EA4: 0BEEEEFA FF00FFFD
	v_mul_f32_dpp v248, v254, v120 quad_perm:[0,0,0,0] row_mask:0xf bank_mask:0xf// 000000009EAC: 0BF0F0FA FF0000FE
	v_mul_f32_dpp v249, v254, v121 quad_perm:[1,1,1,1] row_mask:0xf bank_mask:0xf// 000000009EB4: 0BF2F2FA FF0055FE
	v_mul_f32_dpp v250, v254, v122 quad_perm:[2,2,2,2] row_mask:0xf bank_mask:0xf// 000000009EBC: 0BF4F4FA FF00AAFE
	v_mul_f32_dpp v251, v254, v123 quad_perm:[3,3,3,3] row_mask:0xf bank_mask:0xf// 000000009EC4: 0BF6F6FA FF00FFFE
	v_mul_f32_dpp v252, v255, v124 quad_perm:[0,0,0,0] row_mask:0xf bank_mask:0xf// 000000009ECC: 0BF8F8FA FF0000FF
	v_mul_f32_dpp v253, v255, v125 quad_perm:[1,1,1,1] row_mask:0xf bank_mask:0xf// 000000009ED4: 0BFAFAFA FF0055FF
	v_mul_f32_dpp v254, v255, v126 quad_perm:[2,2,2,2] row_mask:0xf bank_mask:0xf// 000000009EDC: 0BFCFCFA FF00AAFF
	v_mul_f32_dpp v255, v255, v127 quad_perm:[3,3,3,3] row_mask:0xf bank_mask:0xf// 000000009EE4: 0BFEFEFA FF00FFFF
	v_mov_b32_e32 v48, 0x358637bd                              // 000000009EEC: 7E6002FF 358637BD
	v_max3_f32 v48, |v240|, |v241|, v48                        // 000000009EF4: D1D30330 04C3E3F0
	v_max3_f32 v48, |v242|, |v243|, v48                        // 000000009EFC: D1D30330 04C3E7F2
	v_max3_f32 v48, |v244|, |v245|, v48                        // 000000009F04: D1D30330 04C3EBF4
	v_max3_f32 v48, |v246|, |v247|, v48                        // 000000009F0C: D1D30330 04C3EFF6
	v_max3_f32 v48, |v248|, |v249|, v48                        // 000000009F14: D1D30330 04C3F3F8
	v_max3_f32 v48, |v250|, |v251|, v48                        // 000000009F1C: D1D30330 04C3F7FA
	v_max3_f32 v48, |v252|, |v253|, v48                        // 000000009F24: D1D30330 04C3FBFC
	v_max3_f32 v48, |v254|, |v255|, v48                        // 000000009F2C: D1D30330 04C3FFFE
	buffer_load_dwordx4 a[108:111], v37, s[20:23], 0 offen     // 000000009F34: E05C1000 80856C25
	ds_write_b32 v8, v48 offset:20992                          // 000000009F3C: D81A5200 00003008
	v_sub_f32_e32 v49, v11, v15                                // 000000009F44: 04621F0B
	v_cndmask_b32_e64 v49, v49, 0, s[40:41]                    // 000000009F48: D1000031 00A10131
	v_mov_b32_e32 v11, v15                                     // 000000009F50: 7E16030F
	v_mul_f32_e32 v49, s64, v49                                // 000000009F54: 0A626240
	v_exp_f32_e32 v49, v49                                     // 000000009F58: 7E624131
	s_waitcnt lgkmcnt(0)                                       // 000000009F5C: BF8CC07F
	s_barrier                                                  // 000000009F60: BF8A0000
	ds_read_b32 v64, v7 offset:20992                           // 000000009F64: D86C5200 40000007
	ds_read_b32 v65, v7 offset:21056                           // 000000009F6C: D86C5240 41000007
	ds_read_b32 v66, v7 offset:21120                           // 000000009F74: D86C5280 42000007
	ds_read_b32 v67, v7 offset:21184                           // 000000009F7C: D86C52C0 43000007
	ds_read_b32 v68, v7 offset:21248                           // 000000009F84: D86C5300 44000007
	ds_read_b32 v69, v7 offset:21312                           // 000000009F8C: D86C5340 45000007
	ds_read_b32 v70, v7 offset:21376                           // 000000009F94: D86C5380 46000007
	ds_read_b32 v71, v7 offset:21440                           // 000000009F9C: D86C53C0 47000007
	ds_read_b32 v72, v7 offset:21504                           // 000000009FA4: D86C5400 48000007
	ds_read_b32 v73, v7 offset:21568                           // 000000009FAC: D86C5440 49000007
	ds_read_b32 v74, v7 offset:21632                           // 000000009FB4: D86C5480 4A000007
	ds_read_b32 v75, v7 offset:21696                           // 000000009FBC: D86C54C0 4B000007
	ds_read_b32 v76, v7 offset:21760                           // 000000009FC4: D86C5500 4C000007
	ds_read_b32 v77, v7 offset:21824                           // 000000009FCC: D86C5540 4D000007
	ds_read_b32 v78, v7 offset:21888                           // 000000009FD4: D86C5580 4E000007
	ds_read_b32 v79, v7 offset:21952                           // 000000009FDC: D86C55C0 4F000007
	v_mul_f32_e32 v38, v49, v38                                // 000000009FE4: 0A4C4D31
	v_mov_b32_e32 v15, v112                                    // 000000009FE8: 7E1E0370
	v_add_f32_e32 v15, v113, v15                               // 000000009FEC: 021E1F71
	v_add_f32_e32 v15, v114, v15                               // 000000009FF0: 021E1F72
	v_add_f32_e32 v15, v115, v15                               // 000000009FF4: 021E1F73
	v_add_f32_e32 v15, v116, v15                               // 000000009FF8: 021E1F74
	v_add_f32_e32 v15, v117, v15                               // 000000009FFC: 021E1F75
	v_add_f32_e32 v15, v118, v15                               // 00000000A000: 021E1F76
	v_add_f32_e32 v15, v119, v15                               // 00000000A004: 021E1F77
	v_add_f32_e32 v15, v120, v15                               // 00000000A008: 021E1F78
	v_add_f32_e32 v15, v121, v15                               // 00000000A00C: 021E1F79
	v_add_f32_e32 v15, v122, v15                               // 00000000A010: 021E1F7A
	v_add_f32_e32 v15, v123, v15                               // 00000000A014: 021E1F7B
	v_add_f32_e32 v15, v124, v15                               // 00000000A018: 021E1F7C
	v_add_f32_e32 v15, v125, v15                               // 00000000A01C: 021E1F7D
	v_add_f32_e32 v15, v126, v15                               // 00000000A020: 021E1F7E
	v_add_f32_e32 v15, v127, v15                               // 00000000A024: 021E1F7F
	v_add_f32_e32 v38, v15, v38                                // 00000000A028: 024C4D0F
	s_waitcnt lgkmcnt(0)                                       // 00000000A02C: BF8CC07F
	v_max3_f32 v48, |v64|, |v65|, v48                          // 00000000A030: D1D30330 04C28340
	v_max3_f32 v48, |v66|, |v67|, v48                          // 00000000A038: D1D30330 04C28742
	v_max3_f32 v48, |v68|, |v69|, v48                          // 00000000A040: D1D30330 04C28B44
	v_max3_f32 v48, |v70|, |v71|, v48                          // 00000000A048: D1D30330 04C28F46
	v_max3_f32 v48, |v72|, |v73|, v48                          // 00000000A050: D1D30330 04C29348
	v_max3_f32 v48, |v74|, |v75|, v48                          // 00000000A058: D1D30330 04C2974A
	v_max3_f32 v48, |v76|, |v77|, v48                          // 00000000A060: D1D30330 04C29B4C
	v_max3_f32 v48, |v78|, |v79|, v48                          // 00000000A068: D1D30330 04C29F4E
	s_nop 2                                                    // 00000000A070: BF800002
	v_rcp_f32_e32 v48, v48                                     // 00000000A074: 7E604530
	s_nop 1                                                    // 00000000A078: BF800001
	v_mul_f32_e32 v48, 0x42fe0000, v48                         // 00000000A07C: 0A6060FF 42FE0000
	v_mul_f32_e32 v112, v48, v240                              // 00000000A084: 0AE1E130
	v_mul_f32_e32 v113, v48, v241                              // 00000000A088: 0AE3E330
	v_mul_f32_e32 v114, v48, v242                              // 00000000A08C: 0AE5E530
	v_mul_f32_e32 v115, v48, v243                              // 00000000A090: 0AE7E730
	v_mul_f32_e32 v116, v48, v244                              // 00000000A094: 0AE9E930
	v_mul_f32_e32 v117, v48, v245                              // 00000000A098: 0AEBEB30
	v_mul_f32_e32 v118, v48, v246                              // 00000000A09C: 0AEDED30
	v_mul_f32_e32 v119, v48, v247                              // 00000000A0A0: 0AEFEF30
	v_mul_f32_e32 v120, v48, v248                              // 00000000A0A4: 0AF1F130
	v_mul_f32_e32 v121, v48, v249                              // 00000000A0A8: 0AF3F330
	v_mul_f32_e32 v122, v48, v250                              // 00000000A0AC: 0AF5F530
	v_mul_f32_e32 v123, v48, v251                              // 00000000A0B0: 0AF7F730
	v_mul_f32_e32 v124, v48, v252                              // 00000000A0B4: 0AF9F930
	v_mul_f32_e32 v125, v48, v253                              // 00000000A0B8: 0AFBFB30
	v_mul_f32_e32 v126, v48, v254                              // 00000000A0BC: 0AFDFD30
	v_mul_f32_e32 v127, v48, v255                              // 00000000A0C0: 0AFFFF30
	v_cvt_i32_f32_e32 v112, v112                               // 00000000A0C4: 7EE01170
	v_cvt_i32_f32_e32 v113, v113                               // 00000000A0C8: 7EE21171
	v_cvt_i32_f32_e32 v114, v114                               // 00000000A0CC: 7EE41172
	v_cvt_i32_f32_e32 v115, v115                               // 00000000A0D0: 7EE61173
	v_cvt_i32_f32_e32 v116, v116                               // 00000000A0D4: 7EE81174
	v_cvt_i32_f32_e32 v117, v117                               // 00000000A0D8: 7EEA1175
	v_cvt_i32_f32_e32 v118, v118                               // 00000000A0DC: 7EEC1176
	v_cvt_i32_f32_e32 v119, v119                               // 00000000A0E0: 7EEE1177
	v_cvt_i32_f32_e32 v120, v120                               // 00000000A0E4: 7EF01178
	v_cvt_i32_f32_e32 v121, v121                               // 00000000A0E8: 7EF21179
	v_cvt_i32_f32_e32 v122, v122                               // 00000000A0EC: 7EF4117A
	v_cvt_i32_f32_e32 v123, v123                               // 00000000A0F0: 7EF6117B
	v_cvt_i32_f32_e32 v124, v124                               // 00000000A0F4: 7EF8117C
	v_cvt_i32_f32_e32 v125, v125                               // 00000000A0F8: 7EFA117D
	v_cvt_i32_f32_e32 v126, v126                               // 00000000A0FC: 7EFC117E
	v_cvt_i32_f32_e32 v127, v127                               // 00000000A100: 7EFE117F
	v_perm_b32 v112, v113, v112, s53                           // 00000000A104: D1ED0070 00D6E171
	v_perm_b32 v112, v114, v112, s54                           // 00000000A10C: D1ED0070 00DAE172
	v_perm_b32 v112, v115, v112, s55                           // 00000000A114: D1ED0070 00DEE173
	v_perm_b32 v113, v117, v116, s53                           // 00000000A11C: D1ED0071 00D6E975
	v_perm_b32 v113, v118, v113, s54                           // 00000000A124: D1ED0071 00DAE376
	v_perm_b32 v113, v119, v113, s55                           // 00000000A12C: D1ED0071 00DEE377
	v_perm_b32 v114, v121, v120, s53                           // 00000000A134: D1ED0072 00D6F179
	v_perm_b32 v114, v122, v114, s54                           // 00000000A13C: D1ED0072 00DAE57A
	v_perm_b32 v114, v123, v114, s55                           // 00000000A144: D1ED0072 00DEE57B
	v_perm_b32 v115, v125, v124, s53                           // 00000000A14C: D1ED0073 00D6F97D
	v_perm_b32 v115, v126, v115, s54                           // 00000000A154: D1ED0073 00DAE77E
	v_perm_b32 v115, v127, v115, s55                           // 00000000A15C: D1ED0073 00DEE77F
	ds_write_b32 v10, v112 offset:25088                        // 00000000A164: D81A6200 0000700A
	ds_write_b32 v10, v113 offset:26112                        // 00000000A16C: D81A6600 0000710A
	ds_write_b32 v10, v114 offset:27136                        // 00000000A174: D81A6A00 0000720A
	ds_write_b32 v10, v115 offset:28160                        // 00000000A17C: D81A6E00 0000730A
	v_add_f32_e32 v208, v208, v176                             // 00000000A184: 03A161D0
	v_add_f32_e32 v209, v209, v177                             // 00000000A188: 03A363D1
	v_add_f32_e32 v210, v210, v178                             // 00000000A18C: 03A565D2
	v_add_f32_e32 v211, v211, v179                             // 00000000A190: 03A767D3
	v_add_f32_e32 v212, v212, v180                             // 00000000A194: 03A969D4
	v_add_f32_e32 v213, v213, v181                             // 00000000A198: 03AB6BD5
	v_add_f32_e32 v214, v214, v182                             // 00000000A19C: 03AD6DD6
	v_add_f32_e32 v215, v215, v183                             // 00000000A1A0: 03AF6FD7
	v_rcp_f32_e32 v44, v48                                     // 00000000A1A4: 7E584530
	s_waitcnt lgkmcnt(0)                                       // 00000000A1A8: BF8CC07F
	s_barrier                                                  // 00000000A1AC: BF8A0000
	ds_read_b64 v[112:113], v9 offset:25088                    // 00000000A1B0: D8EC6200 70000009
	ds_read_b64 v[114:115], v9 offset:25216                    // 00000000A1B8: D8EC6280 72000009
	ds_read_b64 v[116:117], v9 offset:26112                    // 00000000A1C0: D8EC6600 74000009
	ds_read_b64 v[118:119], v9 offset:26240                    // 00000000A1C8: D8EC6680 76000009
	ds_read_b64 v[120:121], v9 offset:27136                    // 00000000A1D0: D8EC6A00 78000009
	ds_read_b64 v[122:123], v9 offset:27264                    // 00000000A1D8: D8EC6A80 7A000009
	ds_read_b64 v[124:125], v9 offset:28160                    // 00000000A1E0: D8EC6E00 7C000009
	ds_read_b64 v[126:127], v9 offset:28288                    // 00000000A1E8: D8EC6E80 7E000009
	v_mov_b32_dpp v64, v42 row_shr:4 row_mask:0xf bank_mask:0xf// 00000000A1F0: 7E8002FA FF01142A
	v_mov_b32_dpp v65, v42 row_shl:4 row_mask:0xf bank_mask:0xf// 00000000A1F8: 7E8202FA FF01042A
	v_cndmask_b32_e64 v248, v42, v64, s[44:45]                 // 00000000A200: D10000F8 00B2812A
	v_cndmask_b32_e64 v249, v65, v42, s[44:45]                 // 00000000A208: D10000F9 00B25541
	v_mov_b32_dpp v64, v248 row_shr:8 row_mask:0xf bank_mask:0xf// 00000000A210: 7E8002FA FF0118F8
	v_mov_b32_dpp v65, v248 row_shl:8 row_mask:0xf bank_mask:0xf// 00000000A218: 7E8202FA FF0108F8
	v_mov_b32_dpp v66, v249 row_shr:8 row_mask:0xf bank_mask:0xf// 00000000A220: 7E8402FA FF0118F9
	v_mov_b32_dpp v67, v249 row_shl:8 row_mask:0xf bank_mask:0xf// 00000000A228: 7E8602FA FF0108F9
	v_mov_b32_e32 v68, v248                                    // 00000000A230: 7E8803F8
	v_mov_b32_e32 v69, v249                                    // 00000000A234: 7E8A03F9
	v_cndmask_b32_e64 v248, v68, v64, s[42:43]                 // 00000000A238: D10000F8 00AA8144
	v_cndmask_b32_e64 v250, v68, v65, s[78:79]                 // 00000000A240: D10000FA 013A8344
	v_cndmask_b32_e64 v249, v69, v66, s[42:43]                 // 00000000A248: D10000F9 00AA8545
	v_cndmask_b32_e64 v251, v69, v67, s[78:79]                 // 00000000A250: D10000FB 013A8745
	v_mov_b32_dpp v64, v57 row_shr:4 row_mask:0xf bank_mask:0xf// 00000000A258: 7E8002FA FF011439
	v_mov_b32_dpp v65, v57 row_shl:4 row_mask:0xf bank_mask:0xf// 00000000A260: 7E8202FA FF010439
	v_cndmask_b32_e64 v252, v57, v64, s[44:45]                 // 00000000A268: D10000FC 00B28139
	v_cndmask_b32_e64 v253, v65, v57, s[44:45]                 // 00000000A270: D10000FD 00B27341
	v_mov_b32_dpp v64, v252 row_shr:8 row_mask:0xf bank_mask:0xf// 00000000A278: 7E8002FA FF0118FC
	v_mov_b32_dpp v65, v252 row_shl:8 row_mask:0xf bank_mask:0xf// 00000000A280: 7E8202FA FF0108FC
	v_mov_b32_dpp v66, v253 row_shr:8 row_mask:0xf bank_mask:0xf// 00000000A288: 7E8402FA FF0118FD
	v_mov_b32_dpp v67, v253 row_shl:8 row_mask:0xf bank_mask:0xf// 00000000A290: 7E8602FA FF0108FD
	v_mov_b32_e32 v68, v252                                    // 00000000A298: 7E8803FC
	v_mov_b32_e32 v69, v253                                    // 00000000A29C: 7E8A03FD
	v_cndmask_b32_e64 v252, v68, v64, s[42:43]                 // 00000000A2A0: D10000FC 00AA8144
	v_cndmask_b32_e64 v254, v68, v65, s[78:79]                 // 00000000A2A8: D10000FE 013A8344
	v_cndmask_b32_e64 v253, v69, v66, s[42:43]                 // 00000000A2B0: D10000FD 00AA8545
	v_cndmask_b32_e64 v255, v69, v67, s[78:79]                 // 00000000A2B8: D10000FF 013A8745
	v_cvt_f32_i32_e32 v128, v128                               // 00000000A2C0: 7F000B80
	v_cvt_f32_i32_e32 v129, v129                               // 00000000A2C4: 7F020B81
	v_cvt_f32_i32_e32 v130, v130                               // 00000000A2C8: 7F040B82
	v_cvt_f32_i32_e32 v131, v131                               // 00000000A2CC: 7F060B83
	v_cvt_f32_i32_e32 v132, v132                               // 00000000A2D0: 7F080B84
	v_cvt_f32_i32_e32 v133, v133                               // 00000000A2D4: 7F0A0B85
	v_cvt_f32_i32_e32 v134, v134                               // 00000000A2D8: 7F0C0B86
	v_cvt_f32_i32_e32 v135, v135                               // 00000000A2DC: 7F0E0B87
	v_cvt_f32_i32_e32 v136, v136                               // 00000000A2E0: 7F100B88
	v_cvt_f32_i32_e32 v137, v137                               // 00000000A2E4: 7F120B89
	v_cvt_f32_i32_e32 v138, v138                               // 00000000A2E8: 7F140B8A
	v_cvt_f32_i32_e32 v139, v139                               // 00000000A2EC: 7F160B8B
	v_cvt_f32_i32_e32 v140, v140                               // 00000000A2F0: 7F180B8C
	v_cvt_f32_i32_e32 v141, v141                               // 00000000A2F4: 7F1A0B8D
	v_cvt_f32_i32_e32 v142, v142                               // 00000000A2F8: 7F1C0B8E
	v_cvt_f32_i32_e32 v143, v143                               // 00000000A2FC: 7F1E0B8F
	v_mul_f32_e32 v128, v19, v128                              // 00000000A300: 0B010113
	v_mul_f32_e32 v129, v19, v129                              // 00000000A304: 0B030313
	v_mul_f32_e32 v130, v19, v130                              // 00000000A308: 0B050513
	v_mul_f32_e32 v131, v19, v131                              // 00000000A30C: 0B070713
	v_mul_f32_e32 v132, v19, v132                              // 00000000A310: 0B090913
	v_mul_f32_e32 v133, v19, v133                              // 00000000A314: 0B0B0B13
	v_mul_f32_e32 v134, v19, v134                              // 00000000A318: 0B0D0D13
	v_mul_f32_e32 v135, v19, v135                              // 00000000A31C: 0B0F0F13
	v_mul_f32_e32 v136, v19, v136                              // 00000000A320: 0B111113
	v_mul_f32_e32 v137, v19, v137                              // 00000000A324: 0B131313
	v_mul_f32_e32 v138, v19, v138                              // 00000000A328: 0B151513
	v_mul_f32_e32 v139, v19, v139                              // 00000000A32C: 0B171713
	v_mul_f32_e32 v140, v19, v140                              // 00000000A330: 0B191913
	v_mul_f32_e32 v141, v19, v141                              // 00000000A334: 0B1B1B13
	v_mul_f32_e32 v142, v19, v142                              // 00000000A338: 0B1D1D13
	v_mul_f32_e32 v143, v19, v143                              // 00000000A33C: 0B1F1F13
	v_mul_f32_dpp v128, v248, v128 quad_perm:[0,0,0,0] row_mask:0xf bank_mask:0xf// 00000000A340: 0B0100FA FF0000F8
	v_mul_f32_dpp v129, v248, v129 quad_perm:[1,1,1,1] row_mask:0xf bank_mask:0xf// 00000000A348: 0B0302FA FF0055F8
	v_mul_f32_dpp v130, v248, v130 quad_perm:[2,2,2,2] row_mask:0xf bank_mask:0xf// 00000000A350: 0B0504FA FF00AAF8
	v_mul_f32_dpp v131, v248, v131 quad_perm:[3,3,3,3] row_mask:0xf bank_mask:0xf// 00000000A358: 0B0706FA FF00FFF8
	v_mul_f32_dpp v132, v249, v132 quad_perm:[0,0,0,0] row_mask:0xf bank_mask:0xf// 00000000A360: 0B0908FA FF0000F9
	v_mul_f32_dpp v133, v249, v133 quad_perm:[1,1,1,1] row_mask:0xf bank_mask:0xf// 00000000A368: 0B0B0AFA FF0055F9
	v_mul_f32_dpp v134, v249, v134 quad_perm:[2,2,2,2] row_mask:0xf bank_mask:0xf// 00000000A370: 0B0D0CFA FF00AAF9
	v_mul_f32_dpp v135, v249, v135 quad_perm:[3,3,3,3] row_mask:0xf bank_mask:0xf// 00000000A378: 0B0F0EFA FF00FFF9
	v_mul_f32_dpp v136, v250, v136 quad_perm:[0,0,0,0] row_mask:0xf bank_mask:0xf// 00000000A380: 0B1110FA FF0000FA
	v_mul_f32_dpp v137, v250, v137 quad_perm:[1,1,1,1] row_mask:0xf bank_mask:0xf// 00000000A388: 0B1312FA FF0055FA
	v_mul_f32_dpp v138, v250, v138 quad_perm:[2,2,2,2] row_mask:0xf bank_mask:0xf// 00000000A390: 0B1514FA FF00AAFA
	v_mul_f32_dpp v139, v250, v139 quad_perm:[3,3,3,3] row_mask:0xf bank_mask:0xf// 00000000A398: 0B1716FA FF00FFFA
	v_mul_f32_dpp v140, v251, v140 quad_perm:[0,0,0,0] row_mask:0xf bank_mask:0xf// 00000000A3A0: 0B1918FA FF0000FB
	v_mul_f32_dpp v141, v251, v141 quad_perm:[1,1,1,1] row_mask:0xf bank_mask:0xf// 00000000A3A8: 0B1B1AFA FF0055FB
	v_mul_f32_dpp v142, v251, v142 quad_perm:[2,2,2,2] row_mask:0xf bank_mask:0xf// 00000000A3B0: 0B1D1CFA FF00AAFB
	v_mul_f32_dpp v143, v251, v143 quad_perm:[3,3,3,3] row_mask:0xf bank_mask:0xf// 00000000A3B8: 0B1F1EFA FF00FFFB
	v_mov_b32_e32 v48, v128                                    // 00000000A3C0: 7E600380
	v_max3_f32 v48, v128, v129, v48                            // 00000000A3C4: D1D30030 04C30380
	v_max3_f32 v48, v130, v131, v48                            // 00000000A3CC: D1D30030 04C30782
	v_max3_f32 v48, v132, v133, v48                            // 00000000A3D4: D1D30030 04C30B84
	v_max3_f32 v48, v134, v135, v48                            // 00000000A3DC: D1D30030 04C30F86
	v_max3_f32 v48, v136, v137, v48                            // 00000000A3E4: D1D30030 04C31388
	v_max3_f32 v48, v138, v139, v48                            // 00000000A3EC: D1D30030 04C3178A
	v_max3_f32 v48, v140, v141, v48                            // 00000000A3F4: D1D30030 04C31B8C
	v_max3_f32 v48, v142, v143, v48                            // 00000000A3FC: D1D30030 04C31F8E
	ds_write_b32 v8, v48 offset:16896                          // 00000000A404: D81A4200 00003008
	v_mul_f32_e32 v216, v50, v216                              // 00000000A40C: 0BB1B132
	v_mul_f32_e32 v217, v50, v217                              // 00000000A410: 0BB3B332
	v_mul_f32_e32 v218, v50, v218                              // 00000000A414: 0BB5B532
	v_mul_f32_e32 v219, v50, v219                              // 00000000A418: 0BB7B732
	v_mul_f32_e32 v220, v50, v220                              // 00000000A41C: 0BB9B932
	v_mul_f32_e32 v221, v50, v221                              // 00000000A420: 0BBBBB32
	v_mul_f32_e32 v222, v50, v222                              // 00000000A424: 0BBDBD32
	v_mul_f32_e32 v223, v50, v223                              // 00000000A428: 0BBFBF32
	s_waitcnt lgkmcnt(0)                                       // 00000000A42C: BF8CC07F
	s_barrier                                                  // 00000000A430: BF8A0000
	ds_read_b32 v64, v7 offset:16896                           // 00000000A434: D86C4200 40000007
	ds_read_b32 v65, v7 offset:16960                           // 00000000A43C: D86C4240 41000007
	ds_read_b32 v66, v7 offset:17024                           // 00000000A444: D86C4280 42000007
	ds_read_b32 v67, v7 offset:17088                           // 00000000A44C: D86C42C0 43000007
	ds_read_b32 v68, v7 offset:17152                           // 00000000A454: D86C4300 44000007
	ds_read_b32 v69, v7 offset:17216                           // 00000000A45C: D86C4340 45000007
	ds_read_b32 v70, v7 offset:17280                           // 00000000A464: D86C4380 46000007
	ds_read_b32 v71, v7 offset:17344                           // 00000000A46C: D86C43C0 47000007
	ds_read_b32 v72, v7 offset:17408                           // 00000000A474: D86C4400 48000007
	ds_read_b32 v73, v7 offset:17472                           // 00000000A47C: D86C4440 49000007
	ds_read_b32 v74, v7 offset:17536                           // 00000000A484: D86C4480 4A000007
	ds_read_b32 v75, v7 offset:17600                           // 00000000A48C: D86C44C0 4B000007
	ds_read_b32 v76, v7 offset:17664                           // 00000000A494: D86C4500 4C000007
	ds_read_b32 v77, v7 offset:17728                           // 00000000A49C: D86C4540 4D000007
	ds_read_b32 v78, v7 offset:17792                           // 00000000A4A4: D86C4580 4E000007
	ds_read_b32 v79, v7 offset:17856                           // 00000000A4AC: D86C45C0 4F000007
	v_cvt_f32_i32_e32 v184, v184                               // 00000000A4B4: 7F700BB8
	v_cvt_f32_i32_e32 v185, v185                               // 00000000A4B8: 7F720BB9
	v_cvt_f32_i32_e32 v186, v186                               // 00000000A4BC: 7F740BBA
	v_cvt_f32_i32_e32 v187, v187                               // 00000000A4C0: 7F760BBB
	v_cvt_f32_i32_e32 v188, v188                               // 00000000A4C4: 7F780BBC
	v_cvt_f32_i32_e32 v189, v189                               // 00000000A4C8: 7F7A0BBD
	v_cvt_f32_i32_e32 v190, v190                               // 00000000A4CC: 7F7C0BBE
	v_cvt_f32_i32_e32 v191, v191                               // 00000000A4D0: 7F7E0BBF
	v_mul_f32_e32 v184, v45, v184                              // 00000000A4D4: 0B71712D
	v_mul_f32_e32 v185, v45, v185                              // 00000000A4D8: 0B73732D
	v_mul_f32_e32 v186, v45, v186                              // 00000000A4DC: 0B75752D
	v_mul_f32_e32 v187, v45, v187                              // 00000000A4E0: 0B77772D
	v_mul_f32_e32 v188, v45, v188                              // 00000000A4E4: 0B79792D
	v_mul_f32_e32 v189, v45, v189                              // 00000000A4E8: 0B7B7B2D
	v_mul_f32_e32 v190, v45, v190                              // 00000000A4EC: 0B7D7D2D
	v_mul_f32_e32 v191, v45, v191                              // 00000000A4F0: 0B7F7F2D
	s_waitcnt lgkmcnt(0)                                       // 00000000A4F4: BF8CC07F
	v_max3_f32 v48, v64, v65, v48                              // 00000000A4F8: D1D30030 04C28340
	v_max3_f32 v48, v66, v67, v48                              // 00000000A500: D1D30030 04C28742
	v_max3_f32 v48, v68, v69, v48                              // 00000000A508: D1D30030 04C28B44
	v_max3_f32 v48, v70, v71, v48                              // 00000000A510: D1D30030 04C28F46
	v_max3_f32 v48, v72, v73, v48                              // 00000000A518: D1D30030 04C29348
	v_max3_f32 v48, v74, v75, v48                              // 00000000A520: D1D30030 04C2974A
	v_max3_f32 v48, v76, v77, v48                              // 00000000A528: D1D30030 04C29B4C
	v_max3_f32 v48, v78, v79, v48                              // 00000000A530: D1D30030 04C29F4E
	v_mov_b32_e32 v64, 0xff800000                              // 00000000A538: 7E8002FF FF800000
	v_cmp_eq_u32_e64 s[40:41], v64, v12                        // 00000000A540: D0CA0028 00021940
	s_nop 1                                                    // 00000000A548: BF800001
	v_max_f32_e32 v15, v48, v12                                // 00000000A54C: 161E1930
	v_mul_f32_e32 v53, s64, v15                                // 00000000A550: 0A6A1E40
	v_fma_f32 v128, v128, s64, -v53                            // 00000000A554: D1CB0080 84D48180
	v_fma_f32 v129, v129, s64, -v53                            // 00000000A55C: D1CB0081 84D48181
	v_fma_f32 v130, v130, s64, -v53                            // 00000000A564: D1CB0082 84D48182
	v_fma_f32 v131, v131, s64, -v53                            // 00000000A56C: D1CB0083 84D48183
	v_fma_f32 v132, v132, s64, -v53                            // 00000000A574: D1CB0084 84D48184
	v_fma_f32 v133, v133, s64, -v53                            // 00000000A57C: D1CB0085 84D48185
	v_fma_f32 v134, v134, s64, -v53                            // 00000000A584: D1CB0086 84D48186
	v_fma_f32 v135, v135, s64, -v53                            // 00000000A58C: D1CB0087 84D48187
	v_fma_f32 v136, v136, s64, -v53                            // 00000000A594: D1CB0088 84D48188
	v_fma_f32 v137, v137, s64, -v53                            // 00000000A59C: D1CB0089 84D48189
	v_fma_f32 v138, v138, s64, -v53                            // 00000000A5A4: D1CB008A 84D4818A
	v_fma_f32 v139, v139, s64, -v53                            // 00000000A5AC: D1CB008B 84D4818B
	v_fma_f32 v140, v140, s64, -v53                            // 00000000A5B4: D1CB008C 84D4818C
	v_fma_f32 v141, v141, s64, -v53                            // 00000000A5BC: D1CB008D 84D4818D
	v_fma_f32 v142, v142, s64, -v53                            // 00000000A5C4: D1CB008E 84D4818E
	v_fma_f32 v143, v143, s64, -v53                            // 00000000A5CC: D1CB008F 84D4818F
	v_exp_f32_e32 v128, v128                                   // 00000000A5D4: 7F004180
	v_exp_f32_e32 v129, v129                                   // 00000000A5D8: 7F024181
	v_exp_f32_e32 v130, v130                                   // 00000000A5DC: 7F044182
	v_exp_f32_e32 v131, v131                                   // 00000000A5E0: 7F064183
	v_exp_f32_e32 v132, v132                                   // 00000000A5E4: 7F084184
	v_exp_f32_e32 v133, v133                                   // 00000000A5E8: 7F0A4185
	v_exp_f32_e32 v134, v134                                   // 00000000A5EC: 7F0C4186
	v_exp_f32_e32 v135, v135                                   // 00000000A5F0: 7F0E4187
	v_exp_f32_e32 v136, v136                                   // 00000000A5F4: 7F104188
	v_exp_f32_e32 v137, v137                                   // 00000000A5F8: 7F124189
	v_exp_f32_e32 v138, v138                                   // 00000000A5FC: 7F14418A
	v_exp_f32_e32 v139, v139                                   // 00000000A600: 7F16418B
	v_exp_f32_e32 v140, v140                                   // 00000000A604: 7F18418C
	v_exp_f32_e32 v141, v141                                   // 00000000A608: 7F1A418D
	v_exp_f32_e32 v142, v142                                   // 00000000A60C: 7F1C418E
	v_exp_f32_e32 v143, v143                                   // 00000000A610: 7F1E418F
	v_mul_f32_dpp v240, v252, v128 quad_perm:[0,0,0,0] row_mask:0xf bank_mask:0xf// 00000000A614: 0BE100FA FF0000FC
	v_mul_f32_dpp v241, v252, v129 quad_perm:[1,1,1,1] row_mask:0xf bank_mask:0xf// 00000000A61C: 0BE302FA FF0055FC
	v_mul_f32_dpp v242, v252, v130 quad_perm:[2,2,2,2] row_mask:0xf bank_mask:0xf// 00000000A624: 0BE504FA FF00AAFC
	v_mul_f32_dpp v243, v252, v131 quad_perm:[3,3,3,3] row_mask:0xf bank_mask:0xf// 00000000A62C: 0BE706FA FF00FFFC
	v_mul_f32_dpp v244, v253, v132 quad_perm:[0,0,0,0] row_mask:0xf bank_mask:0xf// 00000000A634: 0BE908FA FF0000FD
	v_mul_f32_dpp v245, v253, v133 quad_perm:[1,1,1,1] row_mask:0xf bank_mask:0xf// 00000000A63C: 0BEB0AFA FF0055FD
	v_mul_f32_dpp v246, v253, v134 quad_perm:[2,2,2,2] row_mask:0xf bank_mask:0xf// 00000000A644: 0BED0CFA FF00AAFD
	v_mul_f32_dpp v247, v253, v135 quad_perm:[3,3,3,3] row_mask:0xf bank_mask:0xf// 00000000A64C: 0BEF0EFA FF00FFFD
	v_mul_f32_dpp v248, v254, v136 quad_perm:[0,0,0,0] row_mask:0xf bank_mask:0xf// 00000000A654: 0BF110FA FF0000FE
	v_mul_f32_dpp v249, v254, v137 quad_perm:[1,1,1,1] row_mask:0xf bank_mask:0xf// 00000000A65C: 0BF312FA FF0055FE
	v_mul_f32_dpp v250, v254, v138 quad_perm:[2,2,2,2] row_mask:0xf bank_mask:0xf// 00000000A664: 0BF514FA FF00AAFE
	v_mul_f32_dpp v251, v254, v139 quad_perm:[3,3,3,3] row_mask:0xf bank_mask:0xf// 00000000A66C: 0BF716FA FF00FFFE
	v_mul_f32_dpp v252, v255, v140 quad_perm:[0,0,0,0] row_mask:0xf bank_mask:0xf// 00000000A674: 0BF918FA FF0000FF
	v_mul_f32_dpp v253, v255, v141 quad_perm:[1,1,1,1] row_mask:0xf bank_mask:0xf// 00000000A67C: 0BFB1AFA FF0055FF
	v_mul_f32_dpp v254, v255, v142 quad_perm:[2,2,2,2] row_mask:0xf bank_mask:0xf// 00000000A684: 0BFD1CFA FF00AAFF
	v_mul_f32_dpp v255, v255, v143 quad_perm:[3,3,3,3] row_mask:0xf bank_mask:0xf// 00000000A68C: 0BFF1EFA FF00FFFF
	v_mov_b32_e32 v48, 0x358637bd                              // 00000000A694: 7E6002FF 358637BD
	v_max3_f32 v48, |v240|, |v241|, v48                        // 00000000A69C: D1D30330 04C3E3F0
	v_max3_f32 v48, |v242|, |v243|, v48                        // 00000000A6A4: D1D30330 04C3E7F2
	v_max3_f32 v48, |v244|, |v245|, v48                        // 00000000A6AC: D1D30330 04C3EBF4
	v_max3_f32 v48, |v246|, |v247|, v48                        // 00000000A6B4: D1D30330 04C3EFF6
	v_max3_f32 v48, |v248|, |v249|, v48                        // 00000000A6BC: D1D30330 04C3F3F8
	v_max3_f32 v48, |v250|, |v251|, v48                        // 00000000A6C4: D1D30330 04C3F7FA
	v_max3_f32 v48, |v252|, |v253|, v48                        // 00000000A6CC: D1D30330 04C3FBFC
	v_max3_f32 v48, |v254|, |v255|, v48                        // 00000000A6D4: D1D30330 04C3FFFE
	ds_write_b32 v8, v48 offset:20992                          // 00000000A6DC: D81A5200 00003008
	v_sub_f32_e32 v50, v12, v15                                // 00000000A6E4: 04641F0C
	v_cndmask_b32_e64 v50, v50, 0, s[40:41]                    // 00000000A6E8: D1000032 00A10132
	v_mov_b32_e32 v12, v15                                     // 00000000A6F0: 7E18030F
	v_mul_f32_e32 v50, s64, v50                                // 00000000A6F4: 0A646440
	v_exp_f32_e32 v50, v50                                     // 00000000A6F8: 7E644132
	s_waitcnt lgkmcnt(0)                                       // 00000000A6FC: BF8CC07F
	s_barrier                                                  // 00000000A700: BF8A0000
	ds_read_b32 v64, v7 offset:20992                           // 00000000A704: D86C5200 40000007
	ds_read_b32 v65, v7 offset:21056                           // 00000000A70C: D86C5240 41000007
	ds_read_b32 v66, v7 offset:21120                           // 00000000A714: D86C5280 42000007
	ds_read_b32 v67, v7 offset:21184                           // 00000000A71C: D86C52C0 43000007
	ds_read_b32 v68, v7 offset:21248                           // 00000000A724: D86C5300 44000007
	ds_read_b32 v69, v7 offset:21312                           // 00000000A72C: D86C5340 45000007
	ds_read_b32 v70, v7 offset:21376                           // 00000000A734: D86C5380 46000007
	ds_read_b32 v71, v7 offset:21440                           // 00000000A73C: D86C53C0 47000007
	ds_read_b32 v72, v7 offset:21504                           // 00000000A744: D86C5400 48000007
	ds_read_b32 v73, v7 offset:21568                           // 00000000A74C: D86C5440 49000007
	ds_read_b32 v74, v7 offset:21632                           // 00000000A754: D86C5480 4A000007
	ds_read_b32 v75, v7 offset:21696                           // 00000000A75C: D86C54C0 4B000007
	ds_read_b32 v76, v7 offset:21760                           // 00000000A764: D86C5500 4C000007
	ds_read_b32 v77, v7 offset:21824                           // 00000000A76C: D86C5540 4D000007
	ds_read_b32 v78, v7 offset:21888                           // 00000000A774: D86C5580 4E000007
	ds_read_b32 v79, v7 offset:21952                           // 00000000A77C: D86C55C0 4F000007
	v_mul_f32_e32 v39, v50, v39                                // 00000000A784: 0A4E4F32
	v_mov_b32_e32 v15, v128                                    // 00000000A788: 7E1E0380
	v_add_f32_e32 v15, v129, v15                               // 00000000A78C: 021E1F81
	v_add_f32_e32 v15, v130, v15                               // 00000000A790: 021E1F82
	v_add_f32_e32 v15, v131, v15                               // 00000000A794: 021E1F83
	v_add_f32_e32 v15, v132, v15                               // 00000000A798: 021E1F84
	v_add_f32_e32 v15, v133, v15                               // 00000000A79C: 021E1F85
	v_add_f32_e32 v15, v134, v15                               // 00000000A7A0: 021E1F86
	v_add_f32_e32 v15, v135, v15                               // 00000000A7A4: 021E1F87
	v_add_f32_e32 v15, v136, v15                               // 00000000A7A8: 021E1F88
	v_add_f32_e32 v15, v137, v15                               // 00000000A7AC: 021E1F89
	v_add_f32_e32 v15, v138, v15                               // 00000000A7B0: 021E1F8A
	v_add_f32_e32 v15, v139, v15                               // 00000000A7B4: 021E1F8B
	v_add_f32_e32 v15, v140, v15                               // 00000000A7B8: 021E1F8C
	v_add_f32_e32 v15, v141, v15                               // 00000000A7BC: 021E1F8D
	v_add_f32_e32 v15, v142, v15                               // 00000000A7C0: 021E1F8E
	v_add_f32_e32 v15, v143, v15                               // 00000000A7C4: 021E1F8F
	v_add_f32_e32 v39, v15, v39                                // 00000000A7C8: 024E4F0F
	s_waitcnt lgkmcnt(0)                                       // 00000000A7CC: BF8CC07F
	v_max3_f32 v48, |v64|, |v65|, v48                          // 00000000A7D0: D1D30330 04C28340
	v_max3_f32 v48, |v66|, |v67|, v48                          // 00000000A7D8: D1D30330 04C28742
	v_max3_f32 v48, |v68|, |v69|, v48                          // 00000000A7E0: D1D30330 04C28B44
	v_max3_f32 v48, |v70|, |v71|, v48                          // 00000000A7E8: D1D30330 04C28F46
	v_max3_f32 v48, |v72|, |v73|, v48                          // 00000000A7F0: D1D30330 04C29348
	v_max3_f32 v48, |v74|, |v75|, v48                          // 00000000A7F8: D1D30330 04C2974A
	v_max3_f32 v48, |v76|, |v77|, v48                          // 00000000A800: D1D30330 04C29B4C
	v_max3_f32 v48, |v78|, |v79|, v48                          // 00000000A808: D1D30330 04C29F4E
	s_nop 2                                                    // 00000000A810: BF800002
	v_rcp_f32_e32 v48, v48                                     // 00000000A814: 7E604530
	s_nop 1                                                    // 00000000A818: BF800001
	v_mul_f32_e32 v48, 0x42fe0000, v48                         // 00000000A81C: 0A6060FF 42FE0000
	v_mul_f32_e32 v128, v48, v240                              // 00000000A824: 0B01E130
	v_mul_f32_e32 v129, v48, v241                              // 00000000A828: 0B03E330
	v_mul_f32_e32 v130, v48, v242                              // 00000000A82C: 0B05E530
	v_mul_f32_e32 v131, v48, v243                              // 00000000A830: 0B07E730
	v_mul_f32_e32 v132, v48, v244                              // 00000000A834: 0B09E930
	v_mul_f32_e32 v133, v48, v245                              // 00000000A838: 0B0BEB30
	v_mul_f32_e32 v134, v48, v246                              // 00000000A83C: 0B0DED30
	v_mul_f32_e32 v135, v48, v247                              // 00000000A840: 0B0FEF30
	v_mul_f32_e32 v136, v48, v248                              // 00000000A844: 0B11F130
	v_mul_f32_e32 v137, v48, v249                              // 00000000A848: 0B13F330
	v_mul_f32_e32 v138, v48, v250                              // 00000000A84C: 0B15F530
	v_mul_f32_e32 v139, v48, v251                              // 00000000A850: 0B17F730
	v_mul_f32_e32 v140, v48, v252                              // 00000000A854: 0B19F930
	v_mul_f32_e32 v141, v48, v253                              // 00000000A858: 0B1BFB30
	v_mul_f32_e32 v142, v48, v254                              // 00000000A85C: 0B1DFD30
	v_mul_f32_e32 v143, v48, v255                              // 00000000A860: 0B1FFF30
	v_cvt_i32_f32_e32 v128, v128                               // 00000000A864: 7F001180
	v_cvt_i32_f32_e32 v129, v129                               // 00000000A868: 7F021181
	v_cvt_i32_f32_e32 v130, v130                               // 00000000A86C: 7F041182
	v_cvt_i32_f32_e32 v131, v131                               // 00000000A870: 7F061183
	v_cvt_i32_f32_e32 v132, v132                               // 00000000A874: 7F081184
	v_cvt_i32_f32_e32 v133, v133                               // 00000000A878: 7F0A1185
	v_cvt_i32_f32_e32 v134, v134                               // 00000000A87C: 7F0C1186
	v_cvt_i32_f32_e32 v135, v135                               // 00000000A880: 7F0E1187
	v_cvt_i32_f32_e32 v136, v136                               // 00000000A884: 7F101188
	v_cvt_i32_f32_e32 v137, v137                               // 00000000A888: 7F121189
	v_cvt_i32_f32_e32 v138, v138                               // 00000000A88C: 7F14118A
	v_cvt_i32_f32_e32 v139, v139                               // 00000000A890: 7F16118B
	v_cvt_i32_f32_e32 v140, v140                               // 00000000A894: 7F18118C
	v_cvt_i32_f32_e32 v141, v141                               // 00000000A898: 7F1A118D
	v_cvt_i32_f32_e32 v142, v142                               // 00000000A89C: 7F1C118E
	v_cvt_i32_f32_e32 v143, v143                               // 00000000A8A0: 7F1E118F
	v_perm_b32 v128, v129, v128, s53                           // 00000000A8A4: D1ED0080 00D70181
	v_perm_b32 v128, v130, v128, s54                           // 00000000A8AC: D1ED0080 00DB0182
	v_perm_b32 v128, v131, v128, s55                           // 00000000A8B4: D1ED0080 00DF0183
	v_perm_b32 v129, v133, v132, s53                           // 00000000A8BC: D1ED0081 00D70985
	v_perm_b32 v129, v134, v129, s54                           // 00000000A8C4: D1ED0081 00DB0386
	v_perm_b32 v129, v135, v129, s55                           // 00000000A8CC: D1ED0081 00DF0387
	v_perm_b32 v130, v137, v136, s53                           // 00000000A8D4: D1ED0082 00D71189
	v_perm_b32 v130, v138, v130, s54                           // 00000000A8DC: D1ED0082 00DB058A
	v_perm_b32 v130, v139, v130, s55                           // 00000000A8E4: D1ED0082 00DF058B
	v_perm_b32 v131, v141, v140, s53                           // 00000000A8EC: D1ED0083 00D7198D
	v_perm_b32 v131, v142, v131, s54                           // 00000000A8F4: D1ED0083 00DB078E
	v_perm_b32 v131, v143, v131, s55                           // 00000000A8FC: D1ED0083 00DF078F
	ds_write_b32 v10, v128 offset:29184                        // 00000000A904: D81A7200 0000800A
	ds_write_b32 v10, v129 offset:30208                        // 00000000A90C: D81A7600 0000810A
	ds_write_b32 v10, v130 offset:31232                        // 00000000A914: D81A7A00 0000820A
	ds_write_b32 v10, v131 offset:32256                        // 00000000A91C: D81A7E00 0000830A
	v_add_f32_e32 v216, v216, v184                             // 00000000A924: 03B171D8
	v_add_f32_e32 v217, v217, v185                             // 00000000A928: 03B373D9
	v_add_f32_e32 v218, v218, v186                             // 00000000A92C: 03B575DA
	v_add_f32_e32 v219, v219, v187                             // 00000000A930: 03B777DB
	v_add_f32_e32 v220, v220, v188                             // 00000000A934: 03B979DC
	v_add_f32_e32 v221, v221, v189                             // 00000000A938: 03BB7BDD
	v_add_f32_e32 v222, v222, v190                             // 00000000A93C: 03BD7DDE
	v_add_f32_e32 v223, v223, v191                             // 00000000A940: 03BF7FDF
	v_rcp_f32_e32 v45, v48                                     // 00000000A944: 7E5A4530
	s_waitcnt lgkmcnt(0)                                       // 00000000A948: BF8CC07F
	s_barrier                                                  // 00000000A94C: BF8A0000
	ds_read_b64 v[128:129], v9 offset:29184                    // 00000000A950: D8EC7200 80000009
	ds_read_b64 v[130:131], v9 offset:29312                    // 00000000A958: D8EC7280 82000009
	ds_read_b64 v[132:133], v9 offset:30208                    // 00000000A960: D8EC7600 84000009
	ds_read_b64 v[134:135], v9 offset:30336                    // 00000000A968: D8EC7680 86000009
	ds_read_b64 v[136:137], v9 offset:31232                    // 00000000A970: D8EC7A00 88000009
	ds_read_b64 v[138:139], v9 offset:31360                    // 00000000A978: D8EC7A80 8A000009
	ds_read_b64 v[140:141], v9 offset:32256                    // 00000000A980: D8EC7E00 8C000009
	ds_read_b64 v[142:143], v9 offset:32384                    // 00000000A988: D8EC7E80 8E000009
	s_waitcnt vmcnt(15)                                        // 00000000A990: BF8C0F7F
	v_mfma_i32_16x16x32_i8 v[176:179], a[64:65], v[112:113], 0 // 00000000A994: D3D700B0 0A02E140
	buffer_load_dwordx4 a[112:115], v34, s[20:23], 0 offen offset:1024// 00000000A99C: E05C1400 80857022
	v_mfma_i32_16x16x32_i8 v[176:179], a[66:67], v[114:115], v[176:179]// 00000000A9A4: D3D700B0 0EC2E542
	v_mfma_i32_16x16x32_i8 v[176:179], a[68:69], v[116:117], v[176:179]// 00000000A9AC: D3D700B0 0EC2E944
	v_mfma_i32_16x16x32_i8 v[176:179], a[70:71], v[118:119], v[176:179]// 00000000A9B4: D3D700B0 0EC2ED46
	v_mfma_i32_16x16x32_i8 v[176:179], a[72:73], v[120:121], v[176:179]// 00000000A9BC: D3D700B0 0EC2F148
	buffer_load_dwordx4 a[116:119], v35, s[20:23], 0 offen offset:1024// 00000000A9C4: E05C1400 80857423
	v_mfma_i32_16x16x32_i8 v[176:179], a[74:75], v[122:123], v[176:179]// 00000000A9CC: D3D700B0 0EC2F54A
	v_mfma_i32_16x16x32_i8 v[176:179], a[76:77], v[124:125], v[176:179]// 00000000A9D4: D3D700B0 0EC2F94C
	v_mfma_i32_16x16x32_i8 v[176:179], a[78:79], v[126:127], v[176:179]// 00000000A9DC: D3D700B0 0EC2FD4E
	v_mfma_i32_16x16x32_i8 v[180:183], a[80:81], v[112:113], 0 // 00000000A9E4: D3D700B4 0A02E150
	buffer_load_dwordx4 a[120:123], v36, s[20:23], 0 offen offset:1024// 00000000A9EC: E05C1400 80857824
	v_mfma_i32_16x16x32_i8 v[180:183], a[82:83], v[114:115], v[180:183]// 00000000A9F4: D3D700B4 0ED2E552
	v_mfma_i32_16x16x32_i8 v[180:183], a[84:85], v[116:117], v[180:183]// 00000000A9FC: D3D700B4 0ED2E954
	v_mfma_i32_16x16x32_i8 v[180:183], a[86:87], v[118:119], v[180:183]// 00000000AA04: D3D700B4 0ED2ED56
	v_mfma_i32_16x16x32_i8 v[180:183], a[88:89], v[120:121], v[180:183]// 00000000AA0C: D3D700B4 0ED2F158
	buffer_load_dwordx4 a[124:127], v37, s[20:23], 0 offen offset:1024// 00000000AA14: E05C1400 80857C25
	v_mfma_i32_16x16x32_i8 v[180:183], a[90:91], v[122:123], v[180:183]// 00000000AA1C: D3D700B4 0ED2F55A
	v_mfma_i32_16x16x32_i8 v[180:183], a[92:93], v[124:125], v[180:183]// 00000000AA24: D3D700B4 0ED2F95C
	s_lshr_b32 s57, s70, 4                                     // 00000000AA2C: 8F398446
	s_add_u32 s57, 48, s57                                     // 00000000AA30: 803939B0
	v_mfma_i32_16x16x32_i8 v[180:183], a[94:95], v[126:127], v[180:183]// 00000000AA34: D3D700B4 0ED2FD5E
	s_cmp_ge_u32 s57, s73                                      // 00000000AA3C: BF094939
	s_cselect_b32 s56, 0, s56                                  // 00000000AA40: 85383880
	v_mfma_i32_16x16x32_i8 v[184:187], a[64:65], v[128:129], 0 // 00000000AA44: D3D700B8 0A030140
	v_mfma_i32_16x16x32_i8 v[184:187], a[66:67], v[130:131], v[184:187]// 00000000AA4C: D3D700B8 0EE30542
	v_mfma_i32_16x16x32_i8 v[184:187], a[68:69], v[132:133], v[184:187]// 00000000AA54: D3D700B8 0EE30944
	v_mfma_i32_16x16x32_i8 v[184:187], a[70:71], v[134:135], v[184:187]// 00000000AA5C: D3D700B8 0EE30D46
	v_mfma_i32_16x16x32_i8 v[184:187], a[72:73], v[136:137], v[184:187]// 00000000AA64: D3D700B8 0EE31148
	v_mfma_i32_16x16x32_i8 v[184:187], a[74:75], v[138:139], v[184:187]// 00000000AA6C: D3D700B8 0EE3154A
	v_mfma_i32_16x16x32_i8 v[184:187], a[76:77], v[140:141], v[184:187]// 00000000AA74: D3D700B8 0EE3194C
	v_mfma_i32_16x16x32_i8 v[184:187], a[78:79], v[142:143], v[184:187]// 00000000AA7C: D3D700B8 0EE31D4E
	v_mfma_i32_16x16x32_i8 v[188:191], a[80:81], v[128:129], 0 // 00000000AA84: D3D700BC 0A030150
	v_mfma_i32_16x16x32_i8 v[188:191], a[82:83], v[130:131], v[188:191]// 00000000AA8C: D3D700BC 0EF30552
	v_mfma_i32_16x16x32_i8 v[188:191], a[84:85], v[132:133], v[188:191]// 00000000AA94: D3D700BC 0EF30954
	v_mfma_i32_16x16x32_i8 v[188:191], a[86:87], v[134:135], v[188:191]// 00000000AA9C: D3D700BC 0EF30D56
	v_mfma_i32_16x16x32_i8 v[188:191], a[88:89], v[136:137], v[188:191]// 00000000AAA4: D3D700BC 0EF31158
	v_mfma_i32_16x16x32_i8 v[188:191], a[90:91], v[138:139], v[188:191]// 00000000AAAC: D3D700BC 0EF3155A
	v_mfma_i32_16x16x32_i8 v[188:191], a[92:93], v[140:141], v[188:191]// 00000000AAB4: D3D700BC 0EF3195C
	v_mfma_i32_16x16x32_i8 v[188:191], a[94:95], v[142:143], v[188:191]// 00000000AABC: D3D700BC 0EF31D5E
	v_add_u32_e32 v1, s56, v1                                  // 00000000AAC4: 68020238
	s_addk_i32 s70, 0x100                                      // 00000000AAC8: B7460100
	s_cmp_lt_i32 s70, s71                                      // 00000000AACC: BF044746
	s_cbranch_scc0 label_1D94                                  // 00000000AAD0: BF84FB5F
	s_waitcnt vmcnt(8) lgkmcnt(0)                              // 00000000AAD4: BF8C0078
	v_mul_u32_u24_dpp v64, v16, v54 row_newbcast:0 row_mask:0xf bank_mask:0xf// 00000000AAD8: 10806CFA FF015010
	v_mul_u32_u24_dpp v65, v16, v54 row_newbcast:4 row_mask:0xf bank_mask:0xf// 00000000AAE0: 10826CFA FF015410
	v_mul_u32_u24_dpp v66, v16, v54 row_newbcast:8 row_mask:0xf bank_mask:0xf// 00000000AAE8: 10846CFA FF015810
	v_mul_u32_u24_dpp v67, v16, v54 row_newbcast:12 row_mask:0xf bank_mask:0xf// 00000000AAF0: 10866CFA FF015C10
	v_add_u32_e32 v22, v64, v5                                 // 00000000AAF8: 682C0B40
	v_add_u32_e32 v23, v65, v5                                 // 00000000AAFC: 682E0B41
	v_add_u32_e32 v24, v66, v5                                 // 00000000AB00: 68300B42
	v_add_u32_e32 v25, v67, v5                                 // 00000000AB04: 68320B43
	v_mul_u32_u24_dpp v64, v16, v63 quad_perm:[0,0,0,0] row_mask:0xf bank_mask:0xf// 00000000AB08: 10807EFA FF000010
	v_add_u32_e32 v2, v64, v59                                 // 00000000AB10: 68047740
	v_mul_u32_u24_dpp v64, v16, v63 quad_perm:[0,0,0,0] row_mask:0xf bank_mask:0xf// 00000000AB14: 10807EFA FF000010
	v_add_u32_e32 v55, v64, v60                                // 00000000AB1C: 686E7940
	v_mfma_i32_16x16x32_i8 v[112:115], a[32:33], v[80:81], 0   // 00000000AB20: D3D70070 0A02A120
	buffer_load_dwordx4 a[0:3], v22, s[16:19], 0 offen         // 00000000AB28: E05C1000 80840016
	v_mfma_i32_16x16x32_i8 v[112:115], a[34:35], v[82:83], v[112:115]// 00000000AB30: D3D70070 0DC2A522
	v_mfma_i32_16x16x32_i8 v[112:115], a[36:37], v[84:85], v[112:115]// 00000000AB38: D3D70070 0DC2A924
	buffer_load_dword v17, v1, s[24:27], 0 offen               // 00000000AB40: E0501000 80061101
	v_mfma_i32_16x16x32_i8 v[112:115], a[38:39], v[86:87], v[112:115]// 00000000AB48: D3D70070 0DC2AD26
	v_mfma_i32_16x16x32_i8 v[116:119], a[40:41], v[80:81], 0   // 00000000AB50: D3D70074 0A02A128
	buffer_load_dwordx4 a[4:7], v22, s[16:19], 0 offen offset:1024// 00000000AB58: E05C1400 80840416
	v_mfma_i32_16x16x32_i8 v[116:119], a[42:43], v[82:83], v[116:119]// 00000000AB60: D3D70074 0DD2A52A
	v_mfma_i32_16x16x32_i8 v[116:119], a[44:45], v[84:85], v[116:119]// 00000000AB68: D3D70074 0DD2A92C
	v_mfma_i32_16x16x32_i8 v[116:119], a[46:47], v[86:87], v[116:119]// 00000000AB70: D3D70074 0DD2AD2E
	v_mfma_i32_16x16x32_i8 v[120:123], a[48:49], v[80:81], 0   // 00000000AB78: D3D70078 0A02A130
	buffer_load_dwordx4 a[8:11], v23, s[16:19], 0 offen        // 00000000AB80: E05C1000 80840817
	v_mfma_i32_16x16x32_i8 v[120:123], a[50:51], v[82:83], v[120:123]// 00000000AB88: D3D70078 0DE2A532
	v_mfma_i32_16x16x32_i8 v[120:123], a[52:53], v[84:85], v[120:123]// 00000000AB90: D3D70078 0DE2A934
	v_mfma_i32_16x16x32_i8 v[120:123], a[54:55], v[86:87], v[120:123]// 00000000AB98: D3D70078 0DE2AD36
	v_mfma_i32_16x16x32_i8 v[124:127], a[56:57], v[80:81], 0   // 00000000ABA0: D3D7007C 0A02A138
	buffer_load_dwordx4 a[12:15], v23, s[16:19], 0 offen offset:1024// 00000000ABA8: E05C1400 80840C17
	v_mfma_i32_16x16x32_i8 v[124:127], a[58:59], v[82:83], v[124:127]// 00000000ABB0: D3D7007C 0DF2A53A
	v_mfma_i32_16x16x32_i8 v[124:127], a[60:61], v[84:85], v[124:127]// 00000000ABB8: D3D7007C 0DF2A93C
	v_mfma_i32_16x16x32_i8 v[124:127], a[62:63], v[86:87], v[124:127]// 00000000ABC0: D3D7007C 0DF2AD3E
	v_mfma_i32_16x16x32_i8 v[128:131], a[32:33], v[88:89], 0   // 00000000ABC8: D3D70080 0A02B120
	v_mfma_i32_16x16x32_i8 v[128:131], a[34:35], v[90:91], v[128:131]// 00000000ABD0: D3D70080 0E02B522
	v_mfma_i32_16x16x32_i8 v[128:131], a[36:37], v[92:93], v[128:131]// 00000000ABD8: D3D70080 0E02B924
	v_mfma_i32_16x16x32_i8 v[128:131], a[38:39], v[94:95], v[128:131]// 00000000ABE0: D3D70080 0E02BD26
	v_mfma_i32_16x16x32_i8 v[132:135], a[40:41], v[88:89], 0   // 00000000ABE8: D3D70084 0A02B128
	v_mfma_i32_16x16x32_i8 v[132:135], a[42:43], v[90:91], v[132:135]// 00000000ABF0: D3D70084 0E12B52A
	v_mfma_i32_16x16x32_i8 v[132:135], a[44:45], v[92:93], v[132:135]// 00000000ABF8: D3D70084 0E12B92C
	v_mfma_i32_16x16x32_i8 v[132:135], a[46:47], v[94:95], v[132:135]// 00000000AC00: D3D70084 0E12BD2E
	v_mfma_i32_16x16x32_i8 v[136:139], a[48:49], v[88:89], 0   // 00000000AC08: D3D70088 0A02B130
	v_mfma_i32_16x16x32_i8 v[136:139], a[50:51], v[90:91], v[136:139]// 00000000AC10: D3D70088 0E22B532
	v_mfma_i32_16x16x32_i8 v[136:139], a[52:53], v[92:93], v[136:139]// 00000000AC18: D3D70088 0E22B934
	v_mfma_i32_16x16x32_i8 v[136:139], a[54:55], v[94:95], v[136:139]// 00000000AC20: D3D70088 0E22BD36
	v_mfma_i32_16x16x32_i8 v[140:143], a[56:57], v[88:89], 0   // 00000000AC28: D3D7008C 0A02B138
	v_mfma_i32_16x16x32_i8 v[140:143], a[58:59], v[90:91], v[140:143]// 00000000AC30: D3D7008C 0E32B53A
	v_mfma_i32_16x16x32_i8 v[140:143], a[60:61], v[92:93], v[140:143]// 00000000AC38: D3D7008C 0E32B93C
	v_mfma_i32_16x16x32_i8 v[140:143], a[62:63], v[94:95], v[140:143]// 00000000AC40: D3D7008C 0E32BD3E
	buffer_load_dword v42, v2, s[32:35], 0 offen               // 00000000AC48: E0501000 80082A02
	v_mov_b32_dpp v64, v43 row_shr:4 row_mask:0xf bank_mask:0xf// 00000000AC50: 7E8002FA FF01142B
	v_mov_b32_dpp v65, v43 row_shl:4 row_mask:0xf bank_mask:0xf// 00000000AC58: 7E8202FA FF01042B
	v_cndmask_b32_e64 v248, v43, v64, s[44:45]                 // 00000000AC60: D10000F8 00B2812B
	v_cndmask_b32_e64 v249, v65, v43, s[44:45]                 // 00000000AC68: D10000F9 00B25741
	v_mov_b32_dpp v64, v248 row_shr:8 row_mask:0xf bank_mask:0xf// 00000000AC70: 7E8002FA FF0118F8
	v_mov_b32_dpp v65, v248 row_shl:8 row_mask:0xf bank_mask:0xf// 00000000AC78: 7E8202FA FF0108F8
	v_mov_b32_dpp v66, v249 row_shr:8 row_mask:0xf bank_mask:0xf// 00000000AC80: 7E8402FA FF0118F9
	v_mov_b32_dpp v67, v249 row_shl:8 row_mask:0xf bank_mask:0xf// 00000000AC88: 7E8602FA FF0108F9
	v_mov_b32_e32 v68, v248                                    // 00000000AC90: 7E8803F8
	v_mov_b32_e32 v69, v249                                    // 00000000AC94: 7E8A03F9
	v_cndmask_b32_e64 v248, v68, v64, s[42:43]                 // 00000000AC98: D10000F8 00AA8144
	v_cndmask_b32_e64 v250, v68, v65, s[78:79]                 // 00000000ACA0: D10000FA 013A8344
	v_cndmask_b32_e64 v249, v69, v66, s[42:43]                 // 00000000ACA8: D10000F9 00AA8545
	v_cndmask_b32_e64 v251, v69, v67, s[78:79]                 // 00000000ACB0: D10000FB 013A8745
	v_mov_b32_dpp v64, v58 row_shr:4 row_mask:0xf bank_mask:0xf// 00000000ACB8: 7E8002FA FF01143A
	v_mov_b32_dpp v65, v58 row_shl:4 row_mask:0xf bank_mask:0xf// 00000000ACC0: 7E8202FA FF01043A
	v_cndmask_b32_e64 v252, v58, v64, s[44:45]                 // 00000000ACC8: D10000FC 00B2813A
	v_cndmask_b32_e64 v253, v65, v58, s[44:45]                 // 00000000ACD0: D10000FD 00B27541
	v_mov_b32_dpp v64, v252 row_shr:8 row_mask:0xf bank_mask:0xf// 00000000ACD8: 7E8002FA FF0118FC
	v_mov_b32_dpp v65, v252 row_shl:8 row_mask:0xf bank_mask:0xf// 00000000ACE0: 7E8202FA FF0108FC
	v_mov_b32_dpp v66, v253 row_shr:8 row_mask:0xf bank_mask:0xf// 00000000ACE8: 7E8402FA FF0118FD
	v_mov_b32_dpp v67, v253 row_shl:8 row_mask:0xf bank_mask:0xf// 00000000ACF0: 7E8602FA FF0108FD
	v_mov_b32_e32 v68, v252                                    // 00000000ACF8: 7E8803FC
	v_mov_b32_e32 v69, v253                                    // 00000000ACFC: 7E8A03FD
	v_cndmask_b32_e64 v252, v68, v64, s[42:43]                 // 00000000AD00: D10000FC 00AA8144
	v_cndmask_b32_e64 v254, v68, v65, s[78:79]                 // 00000000AD08: D10000FE 013A8344
	v_cndmask_b32_e64 v253, v69, v66, s[42:43]                 // 00000000AD10: D10000FD 00AA8545
	v_cndmask_b32_e64 v255, v69, v67, s[78:79]                 // 00000000AD18: D10000FF 013A8745
	buffer_load_dword v57, v55, s[36:39], 0 offen              // 00000000AD20: E0501000 80093937
	v_cvt_f32_i32_e32 v112, v112                               // 00000000AD28: 7EE00B70
	v_cvt_f32_i32_e32 v113, v113                               // 00000000AD2C: 7EE20B71
	v_cvt_f32_i32_e32 v114, v114                               // 00000000AD30: 7EE40B72
	v_cvt_f32_i32_e32 v115, v115                               // 00000000AD34: 7EE60B73
	v_cvt_f32_i32_e32 v116, v116                               // 00000000AD38: 7EE80B74
	v_cvt_f32_i32_e32 v117, v117                               // 00000000AD3C: 7EEA0B75
	v_cvt_f32_i32_e32 v118, v118                               // 00000000AD40: 7EEC0B76
	v_cvt_f32_i32_e32 v119, v119                               // 00000000AD44: 7EEE0B77
	v_cvt_f32_i32_e32 v120, v120                               // 00000000AD48: 7EF00B78
	v_cvt_f32_i32_e32 v121, v121                               // 00000000AD4C: 7EF20B79
	v_cvt_f32_i32_e32 v122, v122                               // 00000000AD50: 7EF40B7A
	v_cvt_f32_i32_e32 v123, v123                               // 00000000AD54: 7EF60B7B
	v_cvt_f32_i32_e32 v124, v124                               // 00000000AD58: 7EF80B7C
	v_cvt_f32_i32_e32 v125, v125                               // 00000000AD5C: 7EFA0B7D
	v_cvt_f32_i32_e32 v126, v126                               // 00000000AD60: 7EFC0B7E
	v_cvt_f32_i32_e32 v127, v127                               // 00000000AD64: 7EFE0B7F
	v_mul_f32_e32 v112, v18, v112                              // 00000000AD68: 0AE0E112
	v_mul_f32_e32 v113, v18, v113                              // 00000000AD6C: 0AE2E312
	v_mul_f32_e32 v114, v18, v114                              // 00000000AD70: 0AE4E512
	v_mul_f32_e32 v115, v18, v115                              // 00000000AD74: 0AE6E712
	v_mul_f32_e32 v116, v18, v116                              // 00000000AD78: 0AE8E912
	v_mul_f32_e32 v117, v18, v117                              // 00000000AD7C: 0AEAEB12
	v_mul_f32_e32 v118, v18, v118                              // 00000000AD80: 0AECED12
	v_mul_f32_e32 v119, v18, v119                              // 00000000AD84: 0AEEEF12
	v_mul_f32_e32 v120, v18, v120                              // 00000000AD88: 0AF0F112
	v_mul_f32_e32 v121, v18, v121                              // 00000000AD8C: 0AF2F312
	v_mul_f32_e32 v122, v18, v122                              // 00000000AD90: 0AF4F512
	v_mul_f32_e32 v123, v18, v123                              // 00000000AD94: 0AF6F712
	v_mul_f32_e32 v124, v18, v124                              // 00000000AD98: 0AF8F912
	v_mul_f32_e32 v125, v18, v125                              // 00000000AD9C: 0AFAFB12
	v_mul_f32_e32 v126, v18, v126                              // 00000000ADA0: 0AFCFD12
	v_mul_f32_e32 v127, v18, v127                              // 00000000ADA4: 0AFEFF12
	buffer_load_dwordx4 a[16:19], v24, s[16:19], 0 offen       // 00000000ADA8: E05C1000 80841018
	v_mul_f32_dpp v112, v248, v112 quad_perm:[0,0,0,0] row_mask:0xf bank_mask:0xf// 00000000ADB0: 0AE0E0FA FF0000F8
	v_mul_f32_dpp v113, v248, v113 quad_perm:[1,1,1,1] row_mask:0xf bank_mask:0xf// 00000000ADB8: 0AE2E2FA FF0055F8
	v_mul_f32_dpp v114, v248, v114 quad_perm:[2,2,2,2] row_mask:0xf bank_mask:0xf// 00000000ADC0: 0AE4E4FA FF00AAF8
	v_mul_f32_dpp v115, v248, v115 quad_perm:[3,3,3,3] row_mask:0xf bank_mask:0xf// 00000000ADC8: 0AE6E6FA FF00FFF8
	v_mul_f32_dpp v116, v249, v116 quad_perm:[0,0,0,0] row_mask:0xf bank_mask:0xf// 00000000ADD0: 0AE8E8FA FF0000F9
	v_mul_f32_dpp v117, v249, v117 quad_perm:[1,1,1,1] row_mask:0xf bank_mask:0xf// 00000000ADD8: 0AEAEAFA FF0055F9
	v_mul_f32_dpp v118, v249, v118 quad_perm:[2,2,2,2] row_mask:0xf bank_mask:0xf// 00000000ADE0: 0AECECFA FF00AAF9
	v_mul_f32_dpp v119, v249, v119 quad_perm:[3,3,3,3] row_mask:0xf bank_mask:0xf// 00000000ADE8: 0AEEEEFA FF00FFF9
	v_mul_f32_dpp v120, v250, v120 quad_perm:[0,0,0,0] row_mask:0xf bank_mask:0xf// 00000000ADF0: 0AF0F0FA FF0000FA
	v_mul_f32_dpp v121, v250, v121 quad_perm:[1,1,1,1] row_mask:0xf bank_mask:0xf// 00000000ADF8: 0AF2F2FA FF0055FA
	v_mul_f32_dpp v122, v250, v122 quad_perm:[2,2,2,2] row_mask:0xf bank_mask:0xf// 00000000AE00: 0AF4F4FA FF00AAFA
	v_mul_f32_dpp v123, v250, v123 quad_perm:[3,3,3,3] row_mask:0xf bank_mask:0xf// 00000000AE08: 0AF6F6FA FF00FFFA
	v_mul_f32_dpp v124, v251, v124 quad_perm:[0,0,0,0] row_mask:0xf bank_mask:0xf// 00000000AE10: 0AF8F8FA FF0000FB
	v_mul_f32_dpp v125, v251, v125 quad_perm:[1,1,1,1] row_mask:0xf bank_mask:0xf// 00000000AE18: 0AFAFAFA FF0055FB
	v_mul_f32_dpp v126, v251, v126 quad_perm:[2,2,2,2] row_mask:0xf bank_mask:0xf// 00000000AE20: 0AFCFCFA FF00AAFB
	v_mul_f32_dpp v127, v251, v127 quad_perm:[3,3,3,3] row_mask:0xf bank_mask:0xf// 00000000AE28: 0AFEFEFA FF00FFFB
	buffer_load_dwordx4 a[20:23], v24, s[16:19], 0 offen offset:1024// 00000000AE30: E05C1400 80841418
	v_mov_b32_e32 v48, v112                                    // 00000000AE38: 7E600370
	v_max3_f32 v48, v112, v113, v48                            // 00000000AE3C: D1D30030 04C2E370
	v_max3_f32 v48, v114, v115, v48                            // 00000000AE44: D1D30030 04C2E772
	v_max3_f32 v48, v116, v117, v48                            // 00000000AE4C: D1D30030 04C2EB74
	v_max3_f32 v48, v118, v119, v48                            // 00000000AE54: D1D30030 04C2EF76
	v_max3_f32 v48, v120, v121, v48                            // 00000000AE5C: D1D30030 04C2F378
	v_max3_f32 v48, v122, v123, v48                            // 00000000AE64: D1D30030 04C2F77A
	v_max3_f32 v48, v124, v125, v48                            // 00000000AE6C: D1D30030 04C2FB7C
	v_max3_f32 v48, v126, v127, v48                            // 00000000AE74: D1D30030 04C2FF7E
	ds_write_b32 v8, v48 offset:16896                          // 00000000AE7C: D81A4200 00003008
	buffer_load_dwordx4 a[24:27], v25, s[16:19], 0 offen       // 00000000AE84: E05C1000 80841819
	v_mul_u32_u24_dpp v64, v16, v54 row_newbcast:1 row_mask:0xf bank_mask:0xf// 00000000AE8C: 10806CFA FF015110
	v_mul_u32_u24_dpp v65, v16, v54 row_newbcast:5 row_mask:0xf bank_mask:0xf// 00000000AE94: 10826CFA FF015510
	v_mul_u32_u24_dpp v66, v16, v54 row_newbcast:9 row_mask:0xf bank_mask:0xf// 00000000AE9C: 10846CFA FF015910
	v_mul_u32_u24_dpp v67, v16, v54 row_newbcast:13 row_mask:0xf bank_mask:0xf// 00000000AEA4: 10866CFA FF015D10
	v_add_u32_e32 v30, v64, v6                                 // 00000000AEAC: 683C0D40
	v_add_u32_e32 v31, v65, v6                                 // 00000000AEB0: 683E0D41
	v_add_u32_e32 v32, v66, v6                                 // 00000000AEB4: 68400D42
	v_add_u32_e32 v33, v67, v6                                 // 00000000AEB8: 68420D43
	v_mul_f32_e32 v208, v49, v208                              // 00000000AEBC: 0BA1A131
	v_mul_f32_e32 v209, v49, v209                              // 00000000AEC0: 0BA3A331
	v_mul_f32_e32 v210, v49, v210                              // 00000000AEC4: 0BA5A531
	v_mul_f32_e32 v211, v49, v211                              // 00000000AEC8: 0BA7A731
	v_mul_f32_e32 v212, v49, v212                              // 00000000AECC: 0BA9A931
	v_mul_f32_e32 v213, v49, v213                              // 00000000AED0: 0BABAB31
	v_mul_f32_e32 v214, v49, v214                              // 00000000AED4: 0BADAD31
	v_mul_f32_e32 v215, v49, v215                              // 00000000AED8: 0BAFAF31
	s_waitcnt lgkmcnt(0)                                       // 00000000AEDC: BF8CC07F
	s_barrier                                                  // 00000000AEE0: BF8A0000
	ds_read_b32 v64, v7 offset:16896                           // 00000000AEE4: D86C4200 40000007
	ds_read_b32 v65, v7 offset:16960                           // 00000000AEEC: D86C4240 41000007
	ds_read_b32 v66, v7 offset:17024                           // 00000000AEF4: D86C4280 42000007
	ds_read_b32 v67, v7 offset:17088                           // 00000000AEFC: D86C42C0 43000007
	ds_read_b32 v68, v7 offset:17152                           // 00000000AF04: D86C4300 44000007
	ds_read_b32 v69, v7 offset:17216                           // 00000000AF0C: D86C4340 45000007
	ds_read_b32 v70, v7 offset:17280                           // 00000000AF14: D86C4380 46000007
	ds_read_b32 v71, v7 offset:17344                           // 00000000AF1C: D86C43C0 47000007
	ds_read_b32 v72, v7 offset:17408                           // 00000000AF24: D86C4400 48000007
	ds_read_b32 v73, v7 offset:17472                           // 00000000AF2C: D86C4440 49000007
	ds_read_b32 v74, v7 offset:17536                           // 00000000AF34: D86C4480 4A000007
	ds_read_b32 v75, v7 offset:17600                           // 00000000AF3C: D86C44C0 4B000007
	ds_read_b32 v76, v7 offset:17664                           // 00000000AF44: D86C4500 4C000007
	ds_read_b32 v77, v7 offset:17728                           // 00000000AF4C: D86C4540 4D000007
	ds_read_b32 v78, v7 offset:17792                           // 00000000AF54: D86C4580 4E000007
	ds_read_b32 v79, v7 offset:17856                           // 00000000AF5C: D86C45C0 4F000007
	buffer_load_dwordx4 a[28:31], v25, s[16:19], 0 offen offset:1024// 00000000AF64: E05C1400 80841C19
	v_cvt_f32_i32_e32 v176, v176                               // 00000000AF6C: 7F600BB0
	v_cvt_f32_i32_e32 v177, v177                               // 00000000AF70: 7F620BB1
	v_cvt_f32_i32_e32 v178, v178                               // 00000000AF74: 7F640BB2
	v_cvt_f32_i32_e32 v179, v179                               // 00000000AF78: 7F660BB3
	v_cvt_f32_i32_e32 v180, v180                               // 00000000AF7C: 7F680BB4
	v_cvt_f32_i32_e32 v181, v181                               // 00000000AF80: 7F6A0BB5
	v_cvt_f32_i32_e32 v182, v182                               // 00000000AF84: 7F6C0BB6
	v_cvt_f32_i32_e32 v183, v183                               // 00000000AF88: 7F6E0BB7
	v_mul_f32_e32 v176, v44, v176                              // 00000000AF8C: 0B61612C
	v_mul_f32_e32 v177, v44, v177                              // 00000000AF90: 0B63632C
	v_mul_f32_e32 v178, v44, v178                              // 00000000AF94: 0B65652C
	v_mul_f32_e32 v179, v44, v179                              // 00000000AF98: 0B67672C
	v_mul_f32_e32 v180, v44, v180                              // 00000000AF9C: 0B69692C
	v_mul_f32_e32 v181, v44, v181                              // 00000000AFA0: 0B6B6B2C
	v_mul_f32_e32 v182, v44, v182                              // 00000000AFA4: 0B6D6D2C
	v_mul_f32_e32 v183, v44, v183                              // 00000000AFA8: 0B6F6F2C
	s_waitcnt lgkmcnt(0)                                       // 00000000AFAC: BF8CC07F
	v_max3_f32 v48, v64, v65, v48                              // 00000000AFB0: D1D30030 04C28340
	v_max3_f32 v48, v66, v67, v48                              // 00000000AFB8: D1D30030 04C28742
	v_max3_f32 v48, v68, v69, v48                              // 00000000AFC0: D1D30030 04C28B44
	v_max3_f32 v48, v70, v71, v48                              // 00000000AFC8: D1D30030 04C28F46
	v_max3_f32 v48, v72, v73, v48                              // 00000000AFD0: D1D30030 04C29348
	v_max3_f32 v48, v74, v75, v48                              // 00000000AFD8: D1D30030 04C2974A
	v_max3_f32 v48, v76, v77, v48                              // 00000000AFE0: D1D30030 04C29B4C
	v_max3_f32 v48, v78, v79, v48                              // 00000000AFE8: D1D30030 04C29F4E
	buffer_load_dwordx4 a[64:67], v30, s[20:23], 0 offen       // 00000000AFF0: E05C1000 8085401E
	v_mov_b32_e32 v64, 0xff800000                              // 00000000AFF8: 7E8002FF FF800000
	v_cmp_eq_u32_e64 s[40:41], v64, v11                        // 00000000B000: D0CA0028 00021740
	s_nop 1                                                    // 00000000B008: BF800001
	v_max_f32_e32 v15, v48, v11                                // 00000000B00C: 161E1730
	v_mul_f32_e32 v53, s64, v15                                // 00000000B010: 0A6A1E40
	v_fma_f32 v112, v112, s64, -v53                            // 00000000B014: D1CB0070 84D48170
	v_fma_f32 v113, v113, s64, -v53                            // 00000000B01C: D1CB0071 84D48171
	v_fma_f32 v114, v114, s64, -v53                            // 00000000B024: D1CB0072 84D48172
	v_fma_f32 v115, v115, s64, -v53                            // 00000000B02C: D1CB0073 84D48173
	v_fma_f32 v116, v116, s64, -v53                            // 00000000B034: D1CB0074 84D48174
	v_fma_f32 v117, v117, s64, -v53                            // 00000000B03C: D1CB0075 84D48175
	v_fma_f32 v118, v118, s64, -v53                            // 00000000B044: D1CB0076 84D48176
	v_fma_f32 v119, v119, s64, -v53                            // 00000000B04C: D1CB0077 84D48177
	v_fma_f32 v120, v120, s64, -v53                            // 00000000B054: D1CB0078 84D48178
	v_fma_f32 v121, v121, s64, -v53                            // 00000000B05C: D1CB0079 84D48179
	v_fma_f32 v122, v122, s64, -v53                            // 00000000B064: D1CB007A 84D4817A
	v_fma_f32 v123, v123, s64, -v53                            // 00000000B06C: D1CB007B 84D4817B
	v_fma_f32 v124, v124, s64, -v53                            // 00000000B074: D1CB007C 84D4817C
	v_fma_f32 v125, v125, s64, -v53                            // 00000000B07C: D1CB007D 84D4817D
	v_fma_f32 v126, v126, s64, -v53                            // 00000000B084: D1CB007E 84D4817E
	v_fma_f32 v127, v127, s64, -v53                            // 00000000B08C: D1CB007F 84D4817F
	buffer_load_dwordx4 a[68:71], v31, s[20:23], 0 offen       // 00000000B094: E05C1000 8085441F
	v_exp_f32_e32 v112, v112                                   // 00000000B09C: 7EE04170
	v_exp_f32_e32 v113, v113                                   // 00000000B0A0: 7EE24171
	v_exp_f32_e32 v114, v114                                   // 00000000B0A4: 7EE44172
	v_exp_f32_e32 v115, v115                                   // 00000000B0A8: 7EE64173
	v_exp_f32_e32 v116, v116                                   // 00000000B0AC: 7EE84174
	v_exp_f32_e32 v117, v117                                   // 00000000B0B0: 7EEA4175
	v_exp_f32_e32 v118, v118                                   // 00000000B0B4: 7EEC4176
	v_exp_f32_e32 v119, v119                                   // 00000000B0B8: 7EEE4177
	v_exp_f32_e32 v120, v120                                   // 00000000B0BC: 7EF04178
	v_exp_f32_e32 v121, v121                                   // 00000000B0C0: 7EF24179
	v_exp_f32_e32 v122, v122                                   // 00000000B0C4: 7EF4417A
	v_exp_f32_e32 v123, v123                                   // 00000000B0C8: 7EF6417B
	v_exp_f32_e32 v124, v124                                   // 00000000B0CC: 7EF8417C
	v_exp_f32_e32 v125, v125                                   // 00000000B0D0: 7EFA417D
	v_exp_f32_e32 v126, v126                                   // 00000000B0D4: 7EFC417E
	v_exp_f32_e32 v127, v127                                   // 00000000B0D8: 7EFE417F
	buffer_load_dwordx4 a[72:75], v32, s[20:23], 0 offen       // 00000000B0DC: E05C1000 80854820
	v_mul_f32_dpp v240, v252, v112 quad_perm:[0,0,0,0] row_mask:0xf bank_mask:0xf// 00000000B0E4: 0BE0E0FA FF0000FC
	v_mul_f32_dpp v241, v252, v113 quad_perm:[1,1,1,1] row_mask:0xf bank_mask:0xf// 00000000B0EC: 0BE2E2FA FF0055FC
	v_mul_f32_dpp v242, v252, v114 quad_perm:[2,2,2,2] row_mask:0xf bank_mask:0xf// 00000000B0F4: 0BE4E4FA FF00AAFC
	v_mul_f32_dpp v243, v252, v115 quad_perm:[3,3,3,3] row_mask:0xf bank_mask:0xf// 00000000B0FC: 0BE6E6FA FF00FFFC
	v_mul_f32_dpp v244, v253, v116 quad_perm:[0,0,0,0] row_mask:0xf bank_mask:0xf// 00000000B104: 0BE8E8FA FF0000FD
	v_mul_f32_dpp v245, v253, v117 quad_perm:[1,1,1,1] row_mask:0xf bank_mask:0xf// 00000000B10C: 0BEAEAFA FF0055FD
	v_mul_f32_dpp v246, v253, v118 quad_perm:[2,2,2,2] row_mask:0xf bank_mask:0xf// 00000000B114: 0BECECFA FF00AAFD
	v_mul_f32_dpp v247, v253, v119 quad_perm:[3,3,3,3] row_mask:0xf bank_mask:0xf// 00000000B11C: 0BEEEEFA FF00FFFD
	v_mul_f32_dpp v248, v254, v120 quad_perm:[0,0,0,0] row_mask:0xf bank_mask:0xf// 00000000B124: 0BF0F0FA FF0000FE
	v_mul_f32_dpp v249, v254, v121 quad_perm:[1,1,1,1] row_mask:0xf bank_mask:0xf// 00000000B12C: 0BF2F2FA FF0055FE
	v_mul_f32_dpp v250, v254, v122 quad_perm:[2,2,2,2] row_mask:0xf bank_mask:0xf// 00000000B134: 0BF4F4FA FF00AAFE
	v_mul_f32_dpp v251, v254, v123 quad_perm:[3,3,3,3] row_mask:0xf bank_mask:0xf// 00000000B13C: 0BF6F6FA FF00FFFE
	v_mul_f32_dpp v252, v255, v124 quad_perm:[0,0,0,0] row_mask:0xf bank_mask:0xf// 00000000B144: 0BF8F8FA FF0000FF
	v_mul_f32_dpp v253, v255, v125 quad_perm:[1,1,1,1] row_mask:0xf bank_mask:0xf// 00000000B14C: 0BFAFAFA FF0055FF
	v_mul_f32_dpp v254, v255, v126 quad_perm:[2,2,2,2] row_mask:0xf bank_mask:0xf// 00000000B154: 0BFCFCFA FF00AAFF
	v_mul_f32_dpp v255, v255, v127 quad_perm:[3,3,3,3] row_mask:0xf bank_mask:0xf// 00000000B15C: 0BFEFEFA FF00FFFF
	v_mov_b32_e32 v48, 0x358637bd                              // 00000000B164: 7E6002FF 358637BD
	v_max3_f32 v48, |v240|, |v241|, v48                        // 00000000B16C: D1D30330 04C3E3F0
	v_max3_f32 v48, |v242|, |v243|, v48                        // 00000000B174: D1D30330 04C3E7F2
	v_max3_f32 v48, |v244|, |v245|, v48                        // 00000000B17C: D1D30330 04C3EBF4
	v_max3_f32 v48, |v246|, |v247|, v48                        // 00000000B184: D1D30330 04C3EFF6
	v_max3_f32 v48, |v248|, |v249|, v48                        // 00000000B18C: D1D30330 04C3F3F8
	v_max3_f32 v48, |v250|, |v251|, v48                        // 00000000B194: D1D30330 04C3F7FA
	v_max3_f32 v48, |v252|, |v253|, v48                        // 00000000B19C: D1D30330 04C3FBFC
	v_max3_f32 v48, |v254|, |v255|, v48                        // 00000000B1A4: D1D30330 04C3FFFE
	buffer_load_dwordx4 a[76:79], v33, s[20:23], 0 offen       // 00000000B1AC: E05C1000 80854C21
	ds_write_b32 v8, v48 offset:20992                          // 00000000B1B4: D81A5200 00003008
	v_sub_f32_e32 v49, v11, v15                                // 00000000B1BC: 04621F0B
	v_cndmask_b32_e64 v49, v49, 0, s[40:41]                    // 00000000B1C0: D1000031 00A10131
	v_mov_b32_e32 v11, v15                                     // 00000000B1C8: 7E16030F
	v_mul_f32_e32 v49, s64, v49                                // 00000000B1CC: 0A626240
	v_exp_f32_e32 v49, v49                                     // 00000000B1D0: 7E624131
	s_waitcnt lgkmcnt(0)                                       // 00000000B1D4: BF8CC07F
	s_barrier                                                  // 00000000B1D8: BF8A0000
	ds_read_b32 v64, v7 offset:20992                           // 00000000B1DC: D86C5200 40000007
	ds_read_b32 v65, v7 offset:21056                           // 00000000B1E4: D86C5240 41000007
	ds_read_b32 v66, v7 offset:21120                           // 00000000B1EC: D86C5280 42000007
	ds_read_b32 v67, v7 offset:21184                           // 00000000B1F4: D86C52C0 43000007
	ds_read_b32 v68, v7 offset:21248                           // 00000000B1FC: D86C5300 44000007
	ds_read_b32 v69, v7 offset:21312                           // 00000000B204: D86C5340 45000007
	ds_read_b32 v70, v7 offset:21376                           // 00000000B20C: D86C5380 46000007
	ds_read_b32 v71, v7 offset:21440                           // 00000000B214: D86C53C0 47000007
	ds_read_b32 v72, v7 offset:21504                           // 00000000B21C: D86C5400 48000007
	ds_read_b32 v73, v7 offset:21568                           // 00000000B224: D86C5440 49000007
	ds_read_b32 v74, v7 offset:21632                           // 00000000B22C: D86C5480 4A000007
	ds_read_b32 v75, v7 offset:21696                           // 00000000B234: D86C54C0 4B000007
	ds_read_b32 v76, v7 offset:21760                           // 00000000B23C: D86C5500 4C000007
	ds_read_b32 v77, v7 offset:21824                           // 00000000B244: D86C5540 4D000007
	ds_read_b32 v78, v7 offset:21888                           // 00000000B24C: D86C5580 4E000007
	ds_read_b32 v79, v7 offset:21952                           // 00000000B254: D86C55C0 4F000007
	v_mul_f32_e32 v38, v49, v38                                // 00000000B25C: 0A4C4D31
	v_mov_b32_e32 v15, v112                                    // 00000000B260: 7E1E0370
	v_add_f32_e32 v15, v113, v15                               // 00000000B264: 021E1F71
	v_add_f32_e32 v15, v114, v15                               // 00000000B268: 021E1F72
	v_add_f32_e32 v15, v115, v15                               // 00000000B26C: 021E1F73
	v_add_f32_e32 v15, v116, v15                               // 00000000B270: 021E1F74
	v_add_f32_e32 v15, v117, v15                               // 00000000B274: 021E1F75
	v_add_f32_e32 v15, v118, v15                               // 00000000B278: 021E1F76
	v_add_f32_e32 v15, v119, v15                               // 00000000B27C: 021E1F77
	v_add_f32_e32 v15, v120, v15                               // 00000000B280: 021E1F78
	v_add_f32_e32 v15, v121, v15                               // 00000000B284: 021E1F79
	v_add_f32_e32 v15, v122, v15                               // 00000000B288: 021E1F7A
	v_add_f32_e32 v15, v123, v15                               // 00000000B28C: 021E1F7B
	v_add_f32_e32 v15, v124, v15                               // 00000000B290: 021E1F7C
	v_add_f32_e32 v15, v125, v15                               // 00000000B294: 021E1F7D
	v_add_f32_e32 v15, v126, v15                               // 00000000B298: 021E1F7E
	v_add_f32_e32 v15, v127, v15                               // 00000000B29C: 021E1F7F
	v_add_f32_e32 v38, v15, v38                                // 00000000B2A0: 024C4D0F
	s_waitcnt lgkmcnt(0)                                       // 00000000B2A4: BF8CC07F
	v_max3_f32 v48, |v64|, |v65|, v48                          // 00000000B2A8: D1D30330 04C28340
	v_max3_f32 v48, |v66|, |v67|, v48                          // 00000000B2B0: D1D30330 04C28742
	v_max3_f32 v48, |v68|, |v69|, v48                          // 00000000B2B8: D1D30330 04C28B44
	v_max3_f32 v48, |v70|, |v71|, v48                          // 00000000B2C0: D1D30330 04C28F46
	v_max3_f32 v48, |v72|, |v73|, v48                          // 00000000B2C8: D1D30330 04C29348
	v_max3_f32 v48, |v74|, |v75|, v48                          // 00000000B2D0: D1D30330 04C2974A
	v_max3_f32 v48, |v76|, |v77|, v48                          // 00000000B2D8: D1D30330 04C29B4C
	v_max3_f32 v48, |v78|, |v79|, v48                          // 00000000B2E0: D1D30330 04C29F4E
	s_nop 2                                                    // 00000000B2E8: BF800002
	v_rcp_f32_e32 v48, v48                                     // 00000000B2EC: 7E604530
	s_nop 1                                                    // 00000000B2F0: BF800001
	v_mul_f32_e32 v48, 0x42fe0000, v48                         // 00000000B2F4: 0A6060FF 42FE0000
	v_mul_f32_e32 v112, v48, v240                              // 00000000B2FC: 0AE1E130
	v_mul_f32_e32 v113, v48, v241                              // 00000000B300: 0AE3E330
	v_mul_f32_e32 v114, v48, v242                              // 00000000B304: 0AE5E530
	v_mul_f32_e32 v115, v48, v243                              // 00000000B308: 0AE7E730
	v_mul_f32_e32 v116, v48, v244                              // 00000000B30C: 0AE9E930
	v_mul_f32_e32 v117, v48, v245                              // 00000000B310: 0AEBEB30
	v_mul_f32_e32 v118, v48, v246                              // 00000000B314: 0AEDED30
	v_mul_f32_e32 v119, v48, v247                              // 00000000B318: 0AEFEF30
	v_mul_f32_e32 v120, v48, v248                              // 00000000B31C: 0AF1F130
	v_mul_f32_e32 v121, v48, v249                              // 00000000B320: 0AF3F330
	v_mul_f32_e32 v122, v48, v250                              // 00000000B324: 0AF5F530
	v_mul_f32_e32 v123, v48, v251                              // 00000000B328: 0AF7F730
	v_mul_f32_e32 v124, v48, v252                              // 00000000B32C: 0AF9F930
	v_mul_f32_e32 v125, v48, v253                              // 00000000B330: 0AFBFB30
	v_mul_f32_e32 v126, v48, v254                              // 00000000B334: 0AFDFD30
	v_mul_f32_e32 v127, v48, v255                              // 00000000B338: 0AFFFF30
	v_cvt_i32_f32_e32 v112, v112                               // 00000000B33C: 7EE01170
	v_cvt_i32_f32_e32 v113, v113                               // 00000000B340: 7EE21171
	v_cvt_i32_f32_e32 v114, v114                               // 00000000B344: 7EE41172
	v_cvt_i32_f32_e32 v115, v115                               // 00000000B348: 7EE61173
	v_cvt_i32_f32_e32 v116, v116                               // 00000000B34C: 7EE81174
	v_cvt_i32_f32_e32 v117, v117                               // 00000000B350: 7EEA1175
	v_cvt_i32_f32_e32 v118, v118                               // 00000000B354: 7EEC1176
	v_cvt_i32_f32_e32 v119, v119                               // 00000000B358: 7EEE1177
	v_cvt_i32_f32_e32 v120, v120                               // 00000000B35C: 7EF01178
	v_cvt_i32_f32_e32 v121, v121                               // 00000000B360: 7EF21179
	v_cvt_i32_f32_e32 v122, v122                               // 00000000B364: 7EF4117A
	v_cvt_i32_f32_e32 v123, v123                               // 00000000B368: 7EF6117B
	v_cvt_i32_f32_e32 v124, v124                               // 00000000B36C: 7EF8117C
	v_cvt_i32_f32_e32 v125, v125                               // 00000000B370: 7EFA117D
	v_cvt_i32_f32_e32 v126, v126                               // 00000000B374: 7EFC117E
	v_cvt_i32_f32_e32 v127, v127                               // 00000000B378: 7EFE117F
	v_perm_b32 v112, v113, v112, s53                           // 00000000B37C: D1ED0070 00D6E171
	v_perm_b32 v112, v114, v112, s54                           // 00000000B384: D1ED0070 00DAE172
	v_perm_b32 v112, v115, v112, s55                           // 00000000B38C: D1ED0070 00DEE173
	v_perm_b32 v113, v117, v116, s53                           // 00000000B394: D1ED0071 00D6E975
	v_perm_b32 v113, v118, v113, s54                           // 00000000B39C: D1ED0071 00DAE376
	v_perm_b32 v113, v119, v113, s55                           // 00000000B3A4: D1ED0071 00DEE377
	v_perm_b32 v114, v121, v120, s53                           // 00000000B3AC: D1ED0072 00D6F179
	v_perm_b32 v114, v122, v114, s54                           // 00000000B3B4: D1ED0072 00DAE57A
	v_perm_b32 v114, v123, v114, s55                           // 00000000B3BC: D1ED0072 00DEE57B
	v_perm_b32 v115, v125, v124, s53                           // 00000000B3C4: D1ED0073 00D6F97D
	v_perm_b32 v115, v126, v115, s54                           // 00000000B3CC: D1ED0073 00DAE77E
	v_perm_b32 v115, v127, v115, s55                           // 00000000B3D4: D1ED0073 00DEE77F
	ds_write_b32 v10, v112 offset:25088                        // 00000000B3DC: D81A6200 0000700A
	ds_write_b32 v10, v113 offset:26112                        // 00000000B3E4: D81A6600 0000710A
	ds_write_b32 v10, v114 offset:27136                        // 00000000B3EC: D81A6A00 0000720A
	ds_write_b32 v10, v115 offset:28160                        // 00000000B3F4: D81A6E00 0000730A
	v_add_f32_e32 v208, v208, v176                             // 00000000B3FC: 03A161D0
	v_add_f32_e32 v209, v209, v177                             // 00000000B400: 03A363D1
	v_add_f32_e32 v210, v210, v178                             // 00000000B404: 03A565D2
	v_add_f32_e32 v211, v211, v179                             // 00000000B408: 03A767D3
	v_add_f32_e32 v212, v212, v180                             // 00000000B40C: 03A969D4
	v_add_f32_e32 v213, v213, v181                             // 00000000B410: 03AB6BD5
	v_add_f32_e32 v214, v214, v182                             // 00000000B414: 03AD6DD6
	v_add_f32_e32 v215, v215, v183                             // 00000000B418: 03AF6FD7
	v_rcp_f32_e32 v44, v48                                     // 00000000B41C: 7E584530
	s_waitcnt lgkmcnt(0)                                       // 00000000B420: BF8CC07F
	s_barrier                                                  // 00000000B424: BF8A0000
	ds_read_b64 v[112:113], v9 offset:25088                    // 00000000B428: D8EC6200 70000009
	ds_read_b64 v[114:115], v9 offset:25216                    // 00000000B430: D8EC6280 72000009
	ds_read_b64 v[116:117], v9 offset:26112                    // 00000000B438: D8EC6600 74000009
	ds_read_b64 v[118:119], v9 offset:26240                    // 00000000B440: D8EC6680 76000009
	ds_read_b64 v[120:121], v9 offset:27136                    // 00000000B448: D8EC6A00 78000009
	ds_read_b64 v[122:123], v9 offset:27264                    // 00000000B450: D8EC6A80 7A000009
	ds_read_b64 v[124:125], v9 offset:28160                    // 00000000B458: D8EC6E00 7C000009
	ds_read_b64 v[126:127], v9 offset:28288                    // 00000000B460: D8EC6E80 7E000009
	v_mov_b32_dpp v64, v43 row_shr:4 row_mask:0xf bank_mask:0xf// 00000000B468: 7E8002FA FF01142B
	v_mov_b32_dpp v65, v43 row_shl:4 row_mask:0xf bank_mask:0xf// 00000000B470: 7E8202FA FF01042B
	v_cndmask_b32_e64 v248, v43, v64, s[44:45]                 // 00000000B478: D10000F8 00B2812B
	v_cndmask_b32_e64 v249, v65, v43, s[44:45]                 // 00000000B480: D10000F9 00B25741
	v_mov_b32_dpp v64, v248 row_shr:8 row_mask:0xf bank_mask:0xf// 00000000B488: 7E8002FA FF0118F8
	v_mov_b32_dpp v65, v248 row_shl:8 row_mask:0xf bank_mask:0xf// 00000000B490: 7E8202FA FF0108F8
	v_mov_b32_dpp v66, v249 row_shr:8 row_mask:0xf bank_mask:0xf// 00000000B498: 7E8402FA FF0118F9
	v_mov_b32_dpp v67, v249 row_shl:8 row_mask:0xf bank_mask:0xf// 00000000B4A0: 7E8602FA FF0108F9
	v_mov_b32_e32 v68, v248                                    // 00000000B4A8: 7E8803F8
	v_mov_b32_e32 v69, v249                                    // 00000000B4AC: 7E8A03F9
	v_cndmask_b32_e64 v248, v68, v64, s[42:43]                 // 00000000B4B0: D10000F8 00AA8144
	v_cndmask_b32_e64 v250, v68, v65, s[78:79]                 // 00000000B4B8: D10000FA 013A8344
	v_cndmask_b32_e64 v249, v69, v66, s[42:43]                 // 00000000B4C0: D10000F9 00AA8545
	v_cndmask_b32_e64 v251, v69, v67, s[78:79]                 // 00000000B4C8: D10000FB 013A8745
	v_mov_b32_dpp v64, v58 row_shr:4 row_mask:0xf bank_mask:0xf// 00000000B4D0: 7E8002FA FF01143A
	v_mov_b32_dpp v65, v58 row_shl:4 row_mask:0xf bank_mask:0xf// 00000000B4D8: 7E8202FA FF01043A
	v_cndmask_b32_e64 v252, v58, v64, s[44:45]                 // 00000000B4E0: D10000FC 00B2813A
	v_cndmask_b32_e64 v253, v65, v58, s[44:45]                 // 00000000B4E8: D10000FD 00B27541
	v_mov_b32_dpp v64, v252 row_shr:8 row_mask:0xf bank_mask:0xf// 00000000B4F0: 7E8002FA FF0118FC
	v_mov_b32_dpp v65, v252 row_shl:8 row_mask:0xf bank_mask:0xf// 00000000B4F8: 7E8202FA FF0108FC
	v_mov_b32_dpp v66, v253 row_shr:8 row_mask:0xf bank_mask:0xf// 00000000B500: 7E8402FA FF0118FD
	v_mov_b32_dpp v67, v253 row_shl:8 row_mask:0xf bank_mask:0xf// 00000000B508: 7E8602FA FF0108FD
	v_mov_b32_e32 v68, v252                                    // 00000000B510: 7E8803FC
	v_mov_b32_e32 v69, v253                                    // 00000000B514: 7E8A03FD
	v_cndmask_b32_e64 v252, v68, v64, s[42:43]                 // 00000000B518: D10000FC 00AA8144
	v_cndmask_b32_e64 v254, v68, v65, s[78:79]                 // 00000000B520: D10000FE 013A8344
	v_cndmask_b32_e64 v253, v69, v66, s[42:43]                 // 00000000B528: D10000FD 00AA8545
	v_cndmask_b32_e64 v255, v69, v67, s[78:79]                 // 00000000B530: D10000FF 013A8745
	v_cvt_f32_i32_e32 v128, v128                               // 00000000B538: 7F000B80
	v_cvt_f32_i32_e32 v129, v129                               // 00000000B53C: 7F020B81
	v_cvt_f32_i32_e32 v130, v130                               // 00000000B540: 7F040B82
	v_cvt_f32_i32_e32 v131, v131                               // 00000000B544: 7F060B83
	v_cvt_f32_i32_e32 v132, v132                               // 00000000B548: 7F080B84
	v_cvt_f32_i32_e32 v133, v133                               // 00000000B54C: 7F0A0B85
	v_cvt_f32_i32_e32 v134, v134                               // 00000000B550: 7F0C0B86
	v_cvt_f32_i32_e32 v135, v135                               // 00000000B554: 7F0E0B87
	v_cvt_f32_i32_e32 v136, v136                               // 00000000B558: 7F100B88
	v_cvt_f32_i32_e32 v137, v137                               // 00000000B55C: 7F120B89
	v_cvt_f32_i32_e32 v138, v138                               // 00000000B560: 7F140B8A
	v_cvt_f32_i32_e32 v139, v139                               // 00000000B564: 7F160B8B
	v_cvt_f32_i32_e32 v140, v140                               // 00000000B568: 7F180B8C
	v_cvt_f32_i32_e32 v141, v141                               // 00000000B56C: 7F1A0B8D
	v_cvt_f32_i32_e32 v142, v142                               // 00000000B570: 7F1C0B8E
	v_cvt_f32_i32_e32 v143, v143                               // 00000000B574: 7F1E0B8F
	v_mul_f32_e32 v128, v19, v128                              // 00000000B578: 0B010113
	v_mul_f32_e32 v129, v19, v129                              // 00000000B57C: 0B030313
	v_mul_f32_e32 v130, v19, v130                              // 00000000B580: 0B050513
	v_mul_f32_e32 v131, v19, v131                              // 00000000B584: 0B070713
	v_mul_f32_e32 v132, v19, v132                              // 00000000B588: 0B090913
	v_mul_f32_e32 v133, v19, v133                              // 00000000B58C: 0B0B0B13
	v_mul_f32_e32 v134, v19, v134                              // 00000000B590: 0B0D0D13
	v_mul_f32_e32 v135, v19, v135                              // 00000000B594: 0B0F0F13
	v_mul_f32_e32 v136, v19, v136                              // 00000000B598: 0B111113
	v_mul_f32_e32 v137, v19, v137                              // 00000000B59C: 0B131313
	v_mul_f32_e32 v138, v19, v138                              // 00000000B5A0: 0B151513
	v_mul_f32_e32 v139, v19, v139                              // 00000000B5A4: 0B171713
	v_mul_f32_e32 v140, v19, v140                              // 00000000B5A8: 0B191913
	v_mul_f32_e32 v141, v19, v141                              // 00000000B5AC: 0B1B1B13
	v_mul_f32_e32 v142, v19, v142                              // 00000000B5B0: 0B1D1D13
	v_mul_f32_e32 v143, v19, v143                              // 00000000B5B4: 0B1F1F13
	v_mul_f32_dpp v128, v248, v128 quad_perm:[0,0,0,0] row_mask:0xf bank_mask:0xf// 00000000B5B8: 0B0100FA FF0000F8
	v_mul_f32_dpp v129, v248, v129 quad_perm:[1,1,1,1] row_mask:0xf bank_mask:0xf// 00000000B5C0: 0B0302FA FF0055F8
	v_mul_f32_dpp v130, v248, v130 quad_perm:[2,2,2,2] row_mask:0xf bank_mask:0xf// 00000000B5C8: 0B0504FA FF00AAF8
	v_mul_f32_dpp v131, v248, v131 quad_perm:[3,3,3,3] row_mask:0xf bank_mask:0xf// 00000000B5D0: 0B0706FA FF00FFF8
	v_mul_f32_dpp v132, v249, v132 quad_perm:[0,0,0,0] row_mask:0xf bank_mask:0xf// 00000000B5D8: 0B0908FA FF0000F9
	v_mul_f32_dpp v133, v249, v133 quad_perm:[1,1,1,1] row_mask:0xf bank_mask:0xf// 00000000B5E0: 0B0B0AFA FF0055F9
	v_mul_f32_dpp v134, v249, v134 quad_perm:[2,2,2,2] row_mask:0xf bank_mask:0xf// 00000000B5E8: 0B0D0CFA FF00AAF9
	v_mul_f32_dpp v135, v249, v135 quad_perm:[3,3,3,3] row_mask:0xf bank_mask:0xf// 00000000B5F0: 0B0F0EFA FF00FFF9
	v_mul_f32_dpp v136, v250, v136 quad_perm:[0,0,0,0] row_mask:0xf bank_mask:0xf// 00000000B5F8: 0B1110FA FF0000FA
	v_mul_f32_dpp v137, v250, v137 quad_perm:[1,1,1,1] row_mask:0xf bank_mask:0xf// 00000000B600: 0B1312FA FF0055FA
	v_mul_f32_dpp v138, v250, v138 quad_perm:[2,2,2,2] row_mask:0xf bank_mask:0xf// 00000000B608: 0B1514FA FF00AAFA
	v_mul_f32_dpp v139, v250, v139 quad_perm:[3,3,3,3] row_mask:0xf bank_mask:0xf// 00000000B610: 0B1716FA FF00FFFA
	v_mul_f32_dpp v140, v251, v140 quad_perm:[0,0,0,0] row_mask:0xf bank_mask:0xf// 00000000B618: 0B1918FA FF0000FB
	v_mul_f32_dpp v141, v251, v141 quad_perm:[1,1,1,1] row_mask:0xf bank_mask:0xf// 00000000B620: 0B1B1AFA FF0055FB
	v_mul_f32_dpp v142, v251, v142 quad_perm:[2,2,2,2] row_mask:0xf bank_mask:0xf// 00000000B628: 0B1D1CFA FF00AAFB
	v_mul_f32_dpp v143, v251, v143 quad_perm:[3,3,3,3] row_mask:0xf bank_mask:0xf// 00000000B630: 0B1F1EFA FF00FFFB
	v_mov_b32_e32 v48, v128                                    // 00000000B638: 7E600380
	v_max3_f32 v48, v128, v129, v48                            // 00000000B63C: D1D30030 04C30380
	v_max3_f32 v48, v130, v131, v48                            // 00000000B644: D1D30030 04C30782
	v_max3_f32 v48, v132, v133, v48                            // 00000000B64C: D1D30030 04C30B84
	v_max3_f32 v48, v134, v135, v48                            // 00000000B654: D1D30030 04C30F86
	v_max3_f32 v48, v136, v137, v48                            // 00000000B65C: D1D30030 04C31388
	v_max3_f32 v48, v138, v139, v48                            // 00000000B664: D1D30030 04C3178A
	v_max3_f32 v48, v140, v141, v48                            // 00000000B66C: D1D30030 04C31B8C
	v_max3_f32 v48, v142, v143, v48                            // 00000000B674: D1D30030 04C31F8E
	ds_write_b32 v8, v48 offset:16896                          // 00000000B67C: D81A4200 00003008
	v_mul_f32_e32 v216, v50, v216                              // 00000000B684: 0BB1B132
	v_mul_f32_e32 v217, v50, v217                              // 00000000B688: 0BB3B332
	v_mul_f32_e32 v218, v50, v218                              // 00000000B68C: 0BB5B532
	v_mul_f32_e32 v219, v50, v219                              // 00000000B690: 0BB7B732
	v_mul_f32_e32 v220, v50, v220                              // 00000000B694: 0BB9B932
	v_mul_f32_e32 v221, v50, v221                              // 00000000B698: 0BBBBB32
	v_mul_f32_e32 v222, v50, v222                              // 00000000B69C: 0BBDBD32
	v_mul_f32_e32 v223, v50, v223                              // 00000000B6A0: 0BBFBF32
	s_waitcnt lgkmcnt(0)                                       // 00000000B6A4: BF8CC07F
	s_barrier                                                  // 00000000B6A8: BF8A0000
	ds_read_b32 v64, v7 offset:16896                           // 00000000B6AC: D86C4200 40000007
	ds_read_b32 v65, v7 offset:16960                           // 00000000B6B4: D86C4240 41000007
	ds_read_b32 v66, v7 offset:17024                           // 00000000B6BC: D86C4280 42000007
	ds_read_b32 v67, v7 offset:17088                           // 00000000B6C4: D86C42C0 43000007
	ds_read_b32 v68, v7 offset:17152                           // 00000000B6CC: D86C4300 44000007
	ds_read_b32 v69, v7 offset:17216                           // 00000000B6D4: D86C4340 45000007
	ds_read_b32 v70, v7 offset:17280                           // 00000000B6DC: D86C4380 46000007
	ds_read_b32 v71, v7 offset:17344                           // 00000000B6E4: D86C43C0 47000007
	ds_read_b32 v72, v7 offset:17408                           // 00000000B6EC: D86C4400 48000007
	ds_read_b32 v73, v7 offset:17472                           // 00000000B6F4: D86C4440 49000007
	ds_read_b32 v74, v7 offset:17536                           // 00000000B6FC: D86C4480 4A000007
	ds_read_b32 v75, v7 offset:17600                           // 00000000B704: D86C44C0 4B000007
	ds_read_b32 v76, v7 offset:17664                           // 00000000B70C: D86C4500 4C000007
	ds_read_b32 v77, v7 offset:17728                           // 00000000B714: D86C4540 4D000007
	ds_read_b32 v78, v7 offset:17792                           // 00000000B71C: D86C4580 4E000007
	ds_read_b32 v79, v7 offset:17856                           // 00000000B724: D86C45C0 4F000007
	v_cvt_f32_i32_e32 v184, v184                               // 00000000B72C: 7F700BB8
	v_cvt_f32_i32_e32 v185, v185                               // 00000000B730: 7F720BB9
	v_cvt_f32_i32_e32 v186, v186                               // 00000000B734: 7F740BBA
	v_cvt_f32_i32_e32 v187, v187                               // 00000000B738: 7F760BBB
	v_cvt_f32_i32_e32 v188, v188                               // 00000000B73C: 7F780BBC
	v_cvt_f32_i32_e32 v189, v189                               // 00000000B740: 7F7A0BBD
	v_cvt_f32_i32_e32 v190, v190                               // 00000000B744: 7F7C0BBE
	v_cvt_f32_i32_e32 v191, v191                               // 00000000B748: 7F7E0BBF
	v_mul_f32_e32 v184, v45, v184                              // 00000000B74C: 0B71712D
	v_mul_f32_e32 v185, v45, v185                              // 00000000B750: 0B73732D
	v_mul_f32_e32 v186, v45, v186                              // 00000000B754: 0B75752D
	v_mul_f32_e32 v187, v45, v187                              // 00000000B758: 0B77772D
	v_mul_f32_e32 v188, v45, v188                              // 00000000B75C: 0B79792D
	v_mul_f32_e32 v189, v45, v189                              // 00000000B760: 0B7B7B2D
	v_mul_f32_e32 v190, v45, v190                              // 00000000B764: 0B7D7D2D
	v_mul_f32_e32 v191, v45, v191                              // 00000000B768: 0B7F7F2D
	s_waitcnt lgkmcnt(0)                                       // 00000000B76C: BF8CC07F
	v_max3_f32 v48, v64, v65, v48                              // 00000000B770: D1D30030 04C28340
	v_max3_f32 v48, v66, v67, v48                              // 00000000B778: D1D30030 04C28742
	v_max3_f32 v48, v68, v69, v48                              // 00000000B780: D1D30030 04C28B44
	v_max3_f32 v48, v70, v71, v48                              // 00000000B788: D1D30030 04C28F46
	v_max3_f32 v48, v72, v73, v48                              // 00000000B790: D1D30030 04C29348
	v_max3_f32 v48, v74, v75, v48                              // 00000000B798: D1D30030 04C2974A
	v_max3_f32 v48, v76, v77, v48                              // 00000000B7A0: D1D30030 04C29B4C
	v_max3_f32 v48, v78, v79, v48                              // 00000000B7A8: D1D30030 04C29F4E
	v_mov_b32_e32 v64, 0xff800000                              // 00000000B7B0: 7E8002FF FF800000
	v_cmp_eq_u32_e64 s[40:41], v64, v12                        // 00000000B7B8: D0CA0028 00021940
	s_nop 1                                                    // 00000000B7C0: BF800001
	v_max_f32_e32 v15, v48, v12                                // 00000000B7C4: 161E1930
	v_mul_f32_e32 v53, s64, v15                                // 00000000B7C8: 0A6A1E40
	v_fma_f32 v128, v128, s64, -v53                            // 00000000B7CC: D1CB0080 84D48180
	v_fma_f32 v129, v129, s64, -v53                            // 00000000B7D4: D1CB0081 84D48181
	v_fma_f32 v130, v130, s64, -v53                            // 00000000B7DC: D1CB0082 84D48182
	v_fma_f32 v131, v131, s64, -v53                            // 00000000B7E4: D1CB0083 84D48183
	v_fma_f32 v132, v132, s64, -v53                            // 00000000B7EC: D1CB0084 84D48184
	v_fma_f32 v133, v133, s64, -v53                            // 00000000B7F4: D1CB0085 84D48185
	v_fma_f32 v134, v134, s64, -v53                            // 00000000B7FC: D1CB0086 84D48186
	v_fma_f32 v135, v135, s64, -v53                            // 00000000B804: D1CB0087 84D48187
	v_fma_f32 v136, v136, s64, -v53                            // 00000000B80C: D1CB0088 84D48188
	v_fma_f32 v137, v137, s64, -v53                            // 00000000B814: D1CB0089 84D48189
	v_fma_f32 v138, v138, s64, -v53                            // 00000000B81C: D1CB008A 84D4818A
	v_fma_f32 v139, v139, s64, -v53                            // 00000000B824: D1CB008B 84D4818B
	v_fma_f32 v140, v140, s64, -v53                            // 00000000B82C: D1CB008C 84D4818C
	v_fma_f32 v141, v141, s64, -v53                            // 00000000B834: D1CB008D 84D4818D
	v_fma_f32 v142, v142, s64, -v53                            // 00000000B83C: D1CB008E 84D4818E
	v_fma_f32 v143, v143, s64, -v53                            // 00000000B844: D1CB008F 84D4818F
	v_exp_f32_e32 v128, v128                                   // 00000000B84C: 7F004180
	v_exp_f32_e32 v129, v129                                   // 00000000B850: 7F024181
	v_exp_f32_e32 v130, v130                                   // 00000000B854: 7F044182
	v_exp_f32_e32 v131, v131                                   // 00000000B858: 7F064183
	v_exp_f32_e32 v132, v132                                   // 00000000B85C: 7F084184
	v_exp_f32_e32 v133, v133                                   // 00000000B860: 7F0A4185
	v_exp_f32_e32 v134, v134                                   // 00000000B864: 7F0C4186
	v_exp_f32_e32 v135, v135                                   // 00000000B868: 7F0E4187
	v_exp_f32_e32 v136, v136                                   // 00000000B86C: 7F104188
	v_exp_f32_e32 v137, v137                                   // 00000000B870: 7F124189
	v_exp_f32_e32 v138, v138                                   // 00000000B874: 7F14418A
	v_exp_f32_e32 v139, v139                                   // 00000000B878: 7F16418B
	v_exp_f32_e32 v140, v140                                   // 00000000B87C: 7F18418C
	v_exp_f32_e32 v141, v141                                   // 00000000B880: 7F1A418D
	v_exp_f32_e32 v142, v142                                   // 00000000B884: 7F1C418E
	v_exp_f32_e32 v143, v143                                   // 00000000B888: 7F1E418F
	v_mul_f32_dpp v240, v252, v128 quad_perm:[0,0,0,0] row_mask:0xf bank_mask:0xf// 00000000B88C: 0BE100FA FF0000FC
	v_mul_f32_dpp v241, v252, v129 quad_perm:[1,1,1,1] row_mask:0xf bank_mask:0xf// 00000000B894: 0BE302FA FF0055FC
	v_mul_f32_dpp v242, v252, v130 quad_perm:[2,2,2,2] row_mask:0xf bank_mask:0xf// 00000000B89C: 0BE504FA FF00AAFC
	v_mul_f32_dpp v243, v252, v131 quad_perm:[3,3,3,3] row_mask:0xf bank_mask:0xf// 00000000B8A4: 0BE706FA FF00FFFC
	v_mul_f32_dpp v244, v253, v132 quad_perm:[0,0,0,0] row_mask:0xf bank_mask:0xf// 00000000B8AC: 0BE908FA FF0000FD
	v_mul_f32_dpp v245, v253, v133 quad_perm:[1,1,1,1] row_mask:0xf bank_mask:0xf// 00000000B8B4: 0BEB0AFA FF0055FD
	v_mul_f32_dpp v246, v253, v134 quad_perm:[2,2,2,2] row_mask:0xf bank_mask:0xf// 00000000B8BC: 0BED0CFA FF00AAFD
	v_mul_f32_dpp v247, v253, v135 quad_perm:[3,3,3,3] row_mask:0xf bank_mask:0xf// 00000000B8C4: 0BEF0EFA FF00FFFD
	v_mul_f32_dpp v248, v254, v136 quad_perm:[0,0,0,0] row_mask:0xf bank_mask:0xf// 00000000B8CC: 0BF110FA FF0000FE
	v_mul_f32_dpp v249, v254, v137 quad_perm:[1,1,1,1] row_mask:0xf bank_mask:0xf// 00000000B8D4: 0BF312FA FF0055FE
	v_mul_f32_dpp v250, v254, v138 quad_perm:[2,2,2,2] row_mask:0xf bank_mask:0xf// 00000000B8DC: 0BF514FA FF00AAFE
	v_mul_f32_dpp v251, v254, v139 quad_perm:[3,3,3,3] row_mask:0xf bank_mask:0xf// 00000000B8E4: 0BF716FA FF00FFFE
	v_mul_f32_dpp v252, v255, v140 quad_perm:[0,0,0,0] row_mask:0xf bank_mask:0xf// 00000000B8EC: 0BF918FA FF0000FF
	v_mul_f32_dpp v253, v255, v141 quad_perm:[1,1,1,1] row_mask:0xf bank_mask:0xf// 00000000B8F4: 0BFB1AFA FF0055FF
	v_mul_f32_dpp v254, v255, v142 quad_perm:[2,2,2,2] row_mask:0xf bank_mask:0xf// 00000000B8FC: 0BFD1CFA FF00AAFF
	v_mul_f32_dpp v255, v255, v143 quad_perm:[3,3,3,3] row_mask:0xf bank_mask:0xf// 00000000B904: 0BFF1EFA FF00FFFF
	v_mov_b32_e32 v48, 0x358637bd                              // 00000000B90C: 7E6002FF 358637BD
	v_max3_f32 v48, |v240|, |v241|, v48                        // 00000000B914: D1D30330 04C3E3F0
	v_max3_f32 v48, |v242|, |v243|, v48                        // 00000000B91C: D1D30330 04C3E7F2
	v_max3_f32 v48, |v244|, |v245|, v48                        // 00000000B924: D1D30330 04C3EBF4
	v_max3_f32 v48, |v246|, |v247|, v48                        // 00000000B92C: D1D30330 04C3EFF6
	v_max3_f32 v48, |v248|, |v249|, v48                        // 00000000B934: D1D30330 04C3F3F8
	v_max3_f32 v48, |v250|, |v251|, v48                        // 00000000B93C: D1D30330 04C3F7FA
	v_max3_f32 v48, |v252|, |v253|, v48                        // 00000000B944: D1D30330 04C3FBFC
	v_max3_f32 v48, |v254|, |v255|, v48                        // 00000000B94C: D1D30330 04C3FFFE
	ds_write_b32 v8, v48 offset:20992                          // 00000000B954: D81A5200 00003008
	v_sub_f32_e32 v50, v12, v15                                // 00000000B95C: 04641F0C
	v_cndmask_b32_e64 v50, v50, 0, s[40:41]                    // 00000000B960: D1000032 00A10132
	v_mov_b32_e32 v12, v15                                     // 00000000B968: 7E18030F
	v_mul_f32_e32 v50, s64, v50                                // 00000000B96C: 0A646440
	v_exp_f32_e32 v50, v50                                     // 00000000B970: 7E644132
	s_waitcnt lgkmcnt(0)                                       // 00000000B974: BF8CC07F
	s_barrier                                                  // 00000000B978: BF8A0000
	ds_read_b32 v64, v7 offset:20992                           // 00000000B97C: D86C5200 40000007
	ds_read_b32 v65, v7 offset:21056                           // 00000000B984: D86C5240 41000007
	ds_read_b32 v66, v7 offset:21120                           // 00000000B98C: D86C5280 42000007
	ds_read_b32 v67, v7 offset:21184                           // 00000000B994: D86C52C0 43000007
	ds_read_b32 v68, v7 offset:21248                           // 00000000B99C: D86C5300 44000007
	ds_read_b32 v69, v7 offset:21312                           // 00000000B9A4: D86C5340 45000007
	ds_read_b32 v70, v7 offset:21376                           // 00000000B9AC: D86C5380 46000007
	ds_read_b32 v71, v7 offset:21440                           // 00000000B9B4: D86C53C0 47000007
	ds_read_b32 v72, v7 offset:21504                           // 00000000B9BC: D86C5400 48000007
	ds_read_b32 v73, v7 offset:21568                           // 00000000B9C4: D86C5440 49000007
	ds_read_b32 v74, v7 offset:21632                           // 00000000B9CC: D86C5480 4A000007
	ds_read_b32 v75, v7 offset:21696                           // 00000000B9D4: D86C54C0 4B000007
	ds_read_b32 v76, v7 offset:21760                           // 00000000B9DC: D86C5500 4C000007
	ds_read_b32 v77, v7 offset:21824                           // 00000000B9E4: D86C5540 4D000007
	ds_read_b32 v78, v7 offset:21888                           // 00000000B9EC: D86C5580 4E000007
	ds_read_b32 v79, v7 offset:21952                           // 00000000B9F4: D86C55C0 4F000007
	v_mul_f32_e32 v39, v50, v39                                // 00000000B9FC: 0A4E4F32
	v_mov_b32_e32 v15, v128                                    // 00000000BA00: 7E1E0380
	v_add_f32_e32 v15, v129, v15                               // 00000000BA04: 021E1F81
	v_add_f32_e32 v15, v130, v15                               // 00000000BA08: 021E1F82
	v_add_f32_e32 v15, v131, v15                               // 00000000BA0C: 021E1F83
	v_add_f32_e32 v15, v132, v15                               // 00000000BA10: 021E1F84
	v_add_f32_e32 v15, v133, v15                               // 00000000BA14: 021E1F85
	v_add_f32_e32 v15, v134, v15                               // 00000000BA18: 021E1F86
	v_add_f32_e32 v15, v135, v15                               // 00000000BA1C: 021E1F87
	v_add_f32_e32 v15, v136, v15                               // 00000000BA20: 021E1F88
	v_add_f32_e32 v15, v137, v15                               // 00000000BA24: 021E1F89
	v_add_f32_e32 v15, v138, v15                               // 00000000BA28: 021E1F8A
	v_add_f32_e32 v15, v139, v15                               // 00000000BA2C: 021E1F8B
	v_add_f32_e32 v15, v140, v15                               // 00000000BA30: 021E1F8C
	v_add_f32_e32 v15, v141, v15                               // 00000000BA34: 021E1F8D
	v_add_f32_e32 v15, v142, v15                               // 00000000BA38: 021E1F8E
	v_add_f32_e32 v15, v143, v15                               // 00000000BA3C: 021E1F8F
	v_add_f32_e32 v39, v15, v39                                // 00000000BA40: 024E4F0F
	s_waitcnt lgkmcnt(0)                                       // 00000000BA44: BF8CC07F
	v_max3_f32 v48, |v64|, |v65|, v48                          // 00000000BA48: D1D30330 04C28340
	v_max3_f32 v48, |v66|, |v67|, v48                          // 00000000BA50: D1D30330 04C28742
	v_max3_f32 v48, |v68|, |v69|, v48                          // 00000000BA58: D1D30330 04C28B44
	v_max3_f32 v48, |v70|, |v71|, v48                          // 00000000BA60: D1D30330 04C28F46
	v_max3_f32 v48, |v72|, |v73|, v48                          // 00000000BA68: D1D30330 04C29348
	v_max3_f32 v48, |v74|, |v75|, v48                          // 00000000BA70: D1D30330 04C2974A
	v_max3_f32 v48, |v76|, |v77|, v48                          // 00000000BA78: D1D30330 04C29B4C
	v_max3_f32 v48, |v78|, |v79|, v48                          // 00000000BA80: D1D30330 04C29F4E
	s_nop 2                                                    // 00000000BA88: BF800002
	v_rcp_f32_e32 v48, v48                                     // 00000000BA8C: 7E604530
	s_nop 1                                                    // 00000000BA90: BF800001
	v_mul_f32_e32 v48, 0x42fe0000, v48                         // 00000000BA94: 0A6060FF 42FE0000
	v_mul_f32_e32 v128, v48, v240                              // 00000000BA9C: 0B01E130
	v_mul_f32_e32 v129, v48, v241                              // 00000000BAA0: 0B03E330
	v_mul_f32_e32 v130, v48, v242                              // 00000000BAA4: 0B05E530
	v_mul_f32_e32 v131, v48, v243                              // 00000000BAA8: 0B07E730
	v_mul_f32_e32 v132, v48, v244                              // 00000000BAAC: 0B09E930
	v_mul_f32_e32 v133, v48, v245                              // 00000000BAB0: 0B0BEB30
	v_mul_f32_e32 v134, v48, v246                              // 00000000BAB4: 0B0DED30
	v_mul_f32_e32 v135, v48, v247                              // 00000000BAB8: 0B0FEF30
	v_mul_f32_e32 v136, v48, v248                              // 00000000BABC: 0B11F130
	v_mul_f32_e32 v137, v48, v249                              // 00000000BAC0: 0B13F330
	v_mul_f32_e32 v138, v48, v250                              // 00000000BAC4: 0B15F530
	v_mul_f32_e32 v139, v48, v251                              // 00000000BAC8: 0B17F730
	v_mul_f32_e32 v140, v48, v252                              // 00000000BACC: 0B19F930
	v_mul_f32_e32 v141, v48, v253                              // 00000000BAD0: 0B1BFB30
	v_mul_f32_e32 v142, v48, v254                              // 00000000BAD4: 0B1DFD30
	v_mul_f32_e32 v143, v48, v255                              // 00000000BAD8: 0B1FFF30
	v_cvt_i32_f32_e32 v128, v128                               // 00000000BADC: 7F001180
	v_cvt_i32_f32_e32 v129, v129                               // 00000000BAE0: 7F021181
	v_cvt_i32_f32_e32 v130, v130                               // 00000000BAE4: 7F041182
	v_cvt_i32_f32_e32 v131, v131                               // 00000000BAE8: 7F061183
	v_cvt_i32_f32_e32 v132, v132                               // 00000000BAEC: 7F081184
	v_cvt_i32_f32_e32 v133, v133                               // 00000000BAF0: 7F0A1185
	v_cvt_i32_f32_e32 v134, v134                               // 00000000BAF4: 7F0C1186
	v_cvt_i32_f32_e32 v135, v135                               // 00000000BAF8: 7F0E1187
	v_cvt_i32_f32_e32 v136, v136                               // 00000000BAFC: 7F101188
	v_cvt_i32_f32_e32 v137, v137                               // 00000000BB00: 7F121189
	v_cvt_i32_f32_e32 v138, v138                               // 00000000BB04: 7F14118A
	v_cvt_i32_f32_e32 v139, v139                               // 00000000BB08: 7F16118B
	v_cvt_i32_f32_e32 v140, v140                               // 00000000BB0C: 7F18118C
	v_cvt_i32_f32_e32 v141, v141                               // 00000000BB10: 7F1A118D
	v_cvt_i32_f32_e32 v142, v142                               // 00000000BB14: 7F1C118E
	v_cvt_i32_f32_e32 v143, v143                               // 00000000BB18: 7F1E118F
	v_perm_b32 v128, v129, v128, s53                           // 00000000BB1C: D1ED0080 00D70181
	v_perm_b32 v128, v130, v128, s54                           // 00000000BB24: D1ED0080 00DB0182
	v_perm_b32 v128, v131, v128, s55                           // 00000000BB2C: D1ED0080 00DF0183
	v_perm_b32 v129, v133, v132, s53                           // 00000000BB34: D1ED0081 00D70985
	v_perm_b32 v129, v134, v129, s54                           // 00000000BB3C: D1ED0081 00DB0386
	v_perm_b32 v129, v135, v129, s55                           // 00000000BB44: D1ED0081 00DF0387
	v_perm_b32 v130, v137, v136, s53                           // 00000000BB4C: D1ED0082 00D71189
	v_perm_b32 v130, v138, v130, s54                           // 00000000BB54: D1ED0082 00DB058A
	v_perm_b32 v130, v139, v130, s55                           // 00000000BB5C: D1ED0082 00DF058B
	v_perm_b32 v131, v141, v140, s53                           // 00000000BB64: D1ED0083 00D7198D
	v_perm_b32 v131, v142, v131, s54                           // 00000000BB6C: D1ED0083 00DB078E
	v_perm_b32 v131, v143, v131, s55                           // 00000000BB74: D1ED0083 00DF078F
	ds_write_b32 v10, v128 offset:29184                        // 00000000BB7C: D81A7200 0000800A
	ds_write_b32 v10, v129 offset:30208                        // 00000000BB84: D81A7600 0000810A
	ds_write_b32 v10, v130 offset:31232                        // 00000000BB8C: D81A7A00 0000820A
	ds_write_b32 v10, v131 offset:32256                        // 00000000BB94: D81A7E00 0000830A
	v_add_f32_e32 v216, v216, v184                             // 00000000BB9C: 03B171D8
	v_add_f32_e32 v217, v217, v185                             // 00000000BBA0: 03B373D9
	v_add_f32_e32 v218, v218, v186                             // 00000000BBA4: 03B575DA
	v_add_f32_e32 v219, v219, v187                             // 00000000BBA8: 03B777DB
	v_add_f32_e32 v220, v220, v188                             // 00000000BBAC: 03B979DC
	v_add_f32_e32 v221, v221, v189                             // 00000000BBB0: 03BB7BDD
	v_add_f32_e32 v222, v222, v190                             // 00000000BBB4: 03BD7DDE
	v_add_f32_e32 v223, v223, v191                             // 00000000BBB8: 03BF7FDF
	v_rcp_f32_e32 v45, v48                                     // 00000000BBBC: 7E5A4530
	s_waitcnt lgkmcnt(0)                                       // 00000000BBC0: BF8CC07F
	s_barrier                                                  // 00000000BBC4: BF8A0000
	ds_read_b64 v[128:129], v9 offset:29184                    // 00000000BBC8: D8EC7200 80000009
	ds_read_b64 v[130:131], v9 offset:29312                    // 00000000BBD0: D8EC7280 82000009
	ds_read_b64 v[132:133], v9 offset:30208                    // 00000000BBD8: D8EC7600 84000009
	ds_read_b64 v[134:135], v9 offset:30336                    // 00000000BBE0: D8EC7680 86000009
	ds_read_b64 v[136:137], v9 offset:31232                    // 00000000BBE8: D8EC7A00 88000009
	ds_read_b64 v[138:139], v9 offset:31360                    // 00000000BBF0: D8EC7A80 8A000009
	ds_read_b64 v[140:141], v9 offset:32256                    // 00000000BBF8: D8EC7E00 8C000009
	ds_read_b64 v[142:143], v9 offset:32384                    // 00000000BC00: D8EC7E80 8E000009
	s_waitcnt vmcnt(15)                                        // 00000000BC08: BF8C0F7F
	v_mfma_i32_16x16x32_i8 v[176:179], a[96:97], v[112:113], 0 // 00000000BC0C: D3D700B0 0A02E160
	buffer_load_dwordx4 a[80:83], v30, s[20:23], 0 offen offset:1024// 00000000BC14: E05C1400 8085501E
	v_mfma_i32_16x16x32_i8 v[176:179], a[98:99], v[114:115], v[176:179]// 00000000BC1C: D3D700B0 0EC2E562
	v_mfma_i32_16x16x32_i8 v[176:179], a[100:101], v[116:117], v[176:179]// 00000000BC24: D3D700B0 0EC2E964
	v_mfma_i32_16x16x32_i8 v[176:179], a[102:103], v[118:119], v[176:179]// 00000000BC2C: D3D700B0 0EC2ED66
	v_mfma_i32_16x16x32_i8 v[176:179], a[104:105], v[120:121], v[176:179]// 00000000BC34: D3D700B0 0EC2F168
	buffer_load_dwordx4 a[84:87], v31, s[20:23], 0 offen offset:1024// 00000000BC3C: E05C1400 8085541F
	v_mfma_i32_16x16x32_i8 v[176:179], a[106:107], v[122:123], v[176:179]// 00000000BC44: D3D700B0 0EC2F56A
	v_mfma_i32_16x16x32_i8 v[176:179], a[108:109], v[124:125], v[176:179]// 00000000BC4C: D3D700B0 0EC2F96C
	v_mfma_i32_16x16x32_i8 v[176:179], a[110:111], v[126:127], v[176:179]// 00000000BC54: D3D700B0 0EC2FD6E
	v_mfma_i32_16x16x32_i8 v[180:183], a[112:113], v[112:113], 0// 00000000BC5C: D3D700B4 0A02E170
	buffer_load_dwordx4 a[88:91], v32, s[20:23], 0 offen offset:1024// 00000000BC64: E05C1400 80855820
	v_mfma_i32_16x16x32_i8 v[180:183], a[114:115], v[114:115], v[180:183]// 00000000BC6C: D3D700B4 0ED2E572
	v_mfma_i32_16x16x32_i8 v[180:183], a[116:117], v[116:117], v[180:183]// 00000000BC74: D3D700B4 0ED2E974
	v_mfma_i32_16x16x32_i8 v[180:183], a[118:119], v[118:119], v[180:183]// 00000000BC7C: D3D700B4 0ED2ED76
	v_mfma_i32_16x16x32_i8 v[180:183], a[120:121], v[120:121], v[180:183]// 00000000BC84: D3D700B4 0ED2F178
	buffer_load_dwordx4 a[92:95], v33, s[20:23], 0 offen offset:1024// 00000000BC8C: E05C1400 80855C21
	v_mfma_i32_16x16x32_i8 v[180:183], a[122:123], v[122:123], v[180:183]// 00000000BC94: D3D700B4 0ED2F57A
	v_mfma_i32_16x16x32_i8 v[180:183], a[124:125], v[124:125], v[180:183]// 00000000BC9C: D3D700B4 0ED2F97C
	s_lshr_b32 s57, s70, 4                                     // 00000000BCA4: 8F398446
	s_add_u32 s57, 48, s57                                     // 00000000BCA8: 803939B0
	v_mfma_i32_16x16x32_i8 v[180:183], a[126:127], v[126:127], v[180:183]// 00000000BCAC: D3D700B4 0ED2FD7E
	s_cmp_ge_u32 s57, s73                                      // 00000000BCB4: BF094939
	s_cselect_b32 s56, 0, s56                                  // 00000000BCB8: 85383880
	v_mfma_i32_16x16x32_i8 v[184:187], a[96:97], v[128:129], 0 // 00000000BCBC: D3D700B8 0A030160
	v_mfma_i32_16x16x32_i8 v[184:187], a[98:99], v[130:131], v[184:187]// 00000000BCC4: D3D700B8 0EE30562
	v_mfma_i32_16x16x32_i8 v[184:187], a[100:101], v[132:133], v[184:187]// 00000000BCCC: D3D700B8 0EE30964
	v_mfma_i32_16x16x32_i8 v[184:187], a[102:103], v[134:135], v[184:187]// 00000000BCD4: D3D700B8 0EE30D66
	v_mfma_i32_16x16x32_i8 v[184:187], a[104:105], v[136:137], v[184:187]// 00000000BCDC: D3D700B8 0EE31168
	v_mfma_i32_16x16x32_i8 v[184:187], a[106:107], v[138:139], v[184:187]// 00000000BCE4: D3D700B8 0EE3156A
	v_mfma_i32_16x16x32_i8 v[184:187], a[108:109], v[140:141], v[184:187]// 00000000BCEC: D3D700B8 0EE3196C
	v_mfma_i32_16x16x32_i8 v[184:187], a[110:111], v[142:143], v[184:187]// 00000000BCF4: D3D700B8 0EE31D6E
	v_mfma_i32_16x16x32_i8 v[188:191], a[112:113], v[128:129], 0// 00000000BCFC: D3D700BC 0A030170
	v_mfma_i32_16x16x32_i8 v[188:191], a[114:115], v[130:131], v[188:191]// 00000000BD04: D3D700BC 0EF30572
	v_mfma_i32_16x16x32_i8 v[188:191], a[116:117], v[132:133], v[188:191]// 00000000BD0C: D3D700BC 0EF30974
	v_mfma_i32_16x16x32_i8 v[188:191], a[118:119], v[134:135], v[188:191]// 00000000BD14: D3D700BC 0EF30D76
	v_mfma_i32_16x16x32_i8 v[188:191], a[120:121], v[136:137], v[188:191]// 00000000BD1C: D3D700BC 0EF31178
	v_mfma_i32_16x16x32_i8 v[188:191], a[122:123], v[138:139], v[188:191]// 00000000BD24: D3D700BC 0EF3157A
	v_mfma_i32_16x16x32_i8 v[188:191], a[124:125], v[140:141], v[188:191]// 00000000BD2C: D3D700BC 0EF3197C
	v_mfma_i32_16x16x32_i8 v[188:191], a[126:127], v[142:143], v[188:191]// 00000000BD34: D3D700BC 0EF31D7E
	v_add_u32_e32 v1, s56, v1                                  // 00000000BD3C: 68020238
	s_addk_i32 s70, 0x100                                      // 00000000BD40: B7460100
	s_cmp_lt_i32 s70, s71                                      // 00000000BD44: BF044746
	s_cbranch_scc0 label_1D94                                  // 00000000BD48: BF84F6C1
	s_branch label_1D97                                        // 00000000BD4C: BF82F6C3

000000000000bd50 <label_26D4>:
	s_lshr_b32 s60, s71, 4                                     // 00000000BD50: 8F3C8447
	s_cmp_eq_i32 s60, s73                                      // 00000000BD54: BF00493C
	s_cbranch_scc1 label_314F                                  // 00000000BD58: BF850A78
	s_lshr_b32 s60, s71, 8                                     // 00000000BD5C: 8F3C8847
	s_and_b32 s60, s60, 1                                      // 00000000BD60: 863C813C
	s_cmp_eq_i32 s60, 1                                        // 00000000BD64: BF00813C
	s_cbranch_scc1 label_2C15                                  // 00000000BD68: BF85053A
	s_waitcnt vmcnt(8) lgkmcnt(0)                              // 00000000BD6C: BF8C0078
	s_barrier                                                  // 00000000BD70: BF8A0000
	v_mfma_i32_16x16x32_i8 v[112:115], a[0:1], v[80:81], 0     // 00000000BD74: D3D70070 0A02A100
	v_mfma_i32_16x16x32_i8 v[112:115], a[2:3], v[82:83], v[112:115]// 00000000BD7C: D3D70070 0DC2A502
	v_mfma_i32_16x16x32_i8 v[112:115], a[4:5], v[84:85], v[112:115]// 00000000BD84: D3D70070 0DC2A904
	v_mfma_i32_16x16x32_i8 v[112:115], a[6:7], v[86:87], v[112:115]// 00000000BD8C: D3D70070 0DC2AD06
	v_mfma_i32_16x16x32_i8 v[116:119], a[8:9], v[80:81], 0     // 00000000BD94: D3D70074 0A02A108
	v_mfma_i32_16x16x32_i8 v[116:119], a[10:11], v[82:83], v[116:119]// 00000000BD9C: D3D70074 0DD2A50A
	v_mfma_i32_16x16x32_i8 v[116:119], a[12:13], v[84:85], v[116:119]// 00000000BDA4: D3D70074 0DD2A90C
	v_mfma_i32_16x16x32_i8 v[116:119], a[14:15], v[86:87], v[116:119]// 00000000BDAC: D3D70074 0DD2AD0E
	v_mfma_i32_16x16x32_i8 v[120:123], a[16:17], v[80:81], 0   // 00000000BDB4: D3D70078 0A02A110
	v_mfma_i32_16x16x32_i8 v[120:123], a[18:19], v[82:83], v[120:123]// 00000000BDBC: D3D70078 0DE2A512
	v_mfma_i32_16x16x32_i8 v[120:123], a[20:21], v[84:85], v[120:123]// 00000000BDC4: D3D70078 0DE2A914
	v_mfma_i32_16x16x32_i8 v[120:123], a[22:23], v[86:87], v[120:123]// 00000000BDCC: D3D70078 0DE2AD16
	v_mfma_i32_16x16x32_i8 v[124:127], a[24:25], v[80:81], 0   // 00000000BDD4: D3D7007C 0A02A118
	v_mfma_i32_16x16x32_i8 v[124:127], a[26:27], v[82:83], v[124:127]// 00000000BDDC: D3D7007C 0DF2A51A
	v_mfma_i32_16x16x32_i8 v[124:127], a[28:29], v[84:85], v[124:127]// 00000000BDE4: D3D7007C 0DF2A91C
	v_mfma_i32_16x16x32_i8 v[124:127], a[30:31], v[86:87], v[124:127]// 00000000BDEC: D3D7007C 0DF2AD1E
	v_mfma_i32_16x16x32_i8 v[128:131], a[0:1], v[88:89], 0     // 00000000BDF4: D3D70080 0A02B100
	v_mfma_i32_16x16x32_i8 v[128:131], a[2:3], v[90:91], v[128:131]// 00000000BDFC: D3D70080 0E02B502
	v_mfma_i32_16x16x32_i8 v[128:131], a[4:5], v[92:93], v[128:131]// 00000000BE04: D3D70080 0E02B904
	v_mfma_i32_16x16x32_i8 v[128:131], a[6:7], v[94:95], v[128:131]// 00000000BE0C: D3D70080 0E02BD06
	v_mfma_i32_16x16x32_i8 v[132:135], a[8:9], v[88:89], 0     // 00000000BE14: D3D70084 0A02B108
	v_mfma_i32_16x16x32_i8 v[132:135], a[10:11], v[90:91], v[132:135]// 00000000BE1C: D3D70084 0E12B50A
	v_mfma_i32_16x16x32_i8 v[132:135], a[12:13], v[92:93], v[132:135]// 00000000BE24: D3D70084 0E12B90C
	v_mfma_i32_16x16x32_i8 v[132:135], a[14:15], v[94:95], v[132:135]// 00000000BE2C: D3D70084 0E12BD0E
	v_mfma_i32_16x16x32_i8 v[136:139], a[16:17], v[88:89], 0   // 00000000BE34: D3D70088 0A02B110
	v_mfma_i32_16x16x32_i8 v[136:139], a[18:19], v[90:91], v[136:139]// 00000000BE3C: D3D70088 0E22B512
	v_mfma_i32_16x16x32_i8 v[136:139], a[20:21], v[92:93], v[136:139]// 00000000BE44: D3D70088 0E22B914
	v_mfma_i32_16x16x32_i8 v[136:139], a[22:23], v[94:95], v[136:139]// 00000000BE4C: D3D70088 0E22BD16
	v_mfma_i32_16x16x32_i8 v[140:143], a[24:25], v[88:89], 0   // 00000000BE54: D3D7008C 0A02B118
	v_mfma_i32_16x16x32_i8 v[140:143], a[26:27], v[90:91], v[140:143]// 00000000BE5C: D3D7008C 0E32B51A
	v_mfma_i32_16x16x32_i8 v[140:143], a[28:29], v[92:93], v[140:143]// 00000000BE64: D3D7008C 0E32B91C
	v_mfma_i32_16x16x32_i8 v[140:143], a[30:31], v[94:95], v[140:143]// 00000000BE6C: D3D7008C 0E32BD1E
	v_mov_b32_dpp v64, v42 row_shr:4 row_mask:0xf bank_mask:0xf// 00000000BE74: 7E8002FA FF01142A
	v_mov_b32_dpp v65, v42 row_shl:4 row_mask:0xf bank_mask:0xf// 00000000BE7C: 7E8202FA FF01042A
	v_cndmask_b32_e64 v248, v42, v64, s[44:45]                 // 00000000BE84: D10000F8 00B2812A
	v_cndmask_b32_e64 v249, v65, v42, s[44:45]                 // 00000000BE8C: D10000F9 00B25541
	v_mov_b32_dpp v64, v248 row_shr:8 row_mask:0xf bank_mask:0xf// 00000000BE94: 7E8002FA FF0118F8
	v_mov_b32_dpp v65, v248 row_shl:8 row_mask:0xf bank_mask:0xf// 00000000BE9C: 7E8202FA FF0108F8
	v_mov_b32_dpp v66, v249 row_shr:8 row_mask:0xf bank_mask:0xf// 00000000BEA4: 7E8402FA FF0118F9
	v_mov_b32_dpp v67, v249 row_shl:8 row_mask:0xf bank_mask:0xf// 00000000BEAC: 7E8602FA FF0108F9
	v_mov_b32_e32 v68, v248                                    // 00000000BEB4: 7E8803F8
	v_mov_b32_e32 v69, v249                                    // 00000000BEB8: 7E8A03F9
	v_cndmask_b32_e64 v248, v68, v64, s[42:43]                 // 00000000BEBC: D10000F8 00AA8144
	v_cndmask_b32_e64 v250, v68, v65, s[78:79]                 // 00000000BEC4: D10000FA 013A8344
	v_cndmask_b32_e64 v249, v69, v66, s[42:43]                 // 00000000BECC: D10000F9 00AA8545
	v_cndmask_b32_e64 v251, v69, v67, s[78:79]                 // 00000000BED4: D10000FB 013A8745
	v_mov_b32_dpp v64, v57 row_shr:4 row_mask:0xf bank_mask:0xf// 00000000BEDC: 7E8002FA FF011439
	v_mov_b32_dpp v65, v57 row_shl:4 row_mask:0xf bank_mask:0xf// 00000000BEE4: 7E8202FA FF010439
	v_cndmask_b32_e64 v252, v57, v64, s[44:45]                 // 00000000BEEC: D10000FC 00B28139
	v_cndmask_b32_e64 v253, v65, v57, s[44:45]                 // 00000000BEF4: D10000FD 00B27341
	v_mov_b32_dpp v64, v252 row_shr:8 row_mask:0xf bank_mask:0xf// 00000000BEFC: 7E8002FA FF0118FC
	v_mov_b32_dpp v65, v252 row_shl:8 row_mask:0xf bank_mask:0xf// 00000000BF04: 7E8202FA FF0108FC
	v_mov_b32_dpp v66, v253 row_shr:8 row_mask:0xf bank_mask:0xf// 00000000BF0C: 7E8402FA FF0118FD
	v_mov_b32_dpp v67, v253 row_shl:8 row_mask:0xf bank_mask:0xf// 00000000BF14: 7E8602FA FF0108FD
	v_mov_b32_e32 v68, v252                                    // 00000000BF1C: 7E8803FC
	v_mov_b32_e32 v69, v253                                    // 00000000BF20: 7E8A03FD
	v_cndmask_b32_e64 v252, v68, v64, s[42:43]                 // 00000000BF24: D10000FC 00AA8144
	v_cndmask_b32_e64 v254, v68, v65, s[78:79]                 // 00000000BF2C: D10000FE 013A8344
	v_cndmask_b32_e64 v253, v69, v66, s[42:43]                 // 00000000BF34: D10000FD 00AA8545
	v_cndmask_b32_e64 v255, v69, v67, s[78:79]                 // 00000000BF3C: D10000FF 013A8745
	v_cvt_f32_i32_e32 v112, v112                               // 00000000BF44: 7EE00B70
	v_cvt_f32_i32_e32 v113, v113                               // 00000000BF48: 7EE20B71
	v_cvt_f32_i32_e32 v114, v114                               // 00000000BF4C: 7EE40B72
	v_cvt_f32_i32_e32 v115, v115                               // 00000000BF50: 7EE60B73
	v_cvt_f32_i32_e32 v116, v116                               // 00000000BF54: 7EE80B74
	v_cvt_f32_i32_e32 v117, v117                               // 00000000BF58: 7EEA0B75
	v_cvt_f32_i32_e32 v118, v118                               // 00000000BF5C: 7EEC0B76
	v_cvt_f32_i32_e32 v119, v119                               // 00000000BF60: 7EEE0B77
	v_cvt_f32_i32_e32 v120, v120                               // 00000000BF64: 7EF00B78
	v_cvt_f32_i32_e32 v121, v121                               // 00000000BF68: 7EF20B79
	v_cvt_f32_i32_e32 v122, v122                               // 00000000BF6C: 7EF40B7A
	v_cvt_f32_i32_e32 v123, v123                               // 00000000BF70: 7EF60B7B
	v_cvt_f32_i32_e32 v124, v124                               // 00000000BF74: 7EF80B7C
	v_cvt_f32_i32_e32 v125, v125                               // 00000000BF78: 7EFA0B7D
	v_cvt_f32_i32_e32 v126, v126                               // 00000000BF7C: 7EFC0B7E
	v_cvt_f32_i32_e32 v127, v127                               // 00000000BF80: 7EFE0B7F
	v_mul_f32_e32 v112, v18, v112                              // 00000000BF84: 0AE0E112
	v_mul_f32_e32 v113, v18, v113                              // 00000000BF88: 0AE2E312
	v_mul_f32_e32 v114, v18, v114                              // 00000000BF8C: 0AE4E512
	v_mul_f32_e32 v115, v18, v115                              // 00000000BF90: 0AE6E712
	v_mul_f32_e32 v116, v18, v116                              // 00000000BF94: 0AE8E912
	v_mul_f32_e32 v117, v18, v117                              // 00000000BF98: 0AEAEB12
	v_mul_f32_e32 v118, v18, v118                              // 00000000BF9C: 0AECED12
	v_mul_f32_e32 v119, v18, v119                              // 00000000BFA0: 0AEEEF12
	v_mul_f32_e32 v120, v18, v120                              // 00000000BFA4: 0AF0F112
	v_mul_f32_e32 v121, v18, v121                              // 00000000BFA8: 0AF2F312
	v_mul_f32_e32 v122, v18, v122                              // 00000000BFAC: 0AF4F512
	v_mul_f32_e32 v123, v18, v123                              // 00000000BFB0: 0AF6F712
	v_mul_f32_e32 v124, v18, v124                              // 00000000BFB4: 0AF8F912
	v_mul_f32_e32 v125, v18, v125                              // 00000000BFB8: 0AFAFB12
	v_mul_f32_e32 v126, v18, v126                              // 00000000BFBC: 0AFCFD12
	v_mul_f32_e32 v127, v18, v127                              // 00000000BFC0: 0AFEFF12
	v_mul_f32_dpp v112, v248, v112 quad_perm:[0,0,0,0] row_mask:0xf bank_mask:0xf// 00000000BFC4: 0AE0E0FA FF0000F8
	v_mul_f32_dpp v113, v248, v113 quad_perm:[1,1,1,1] row_mask:0xf bank_mask:0xf// 00000000BFCC: 0AE2E2FA FF0055F8
	v_mul_f32_dpp v114, v248, v114 quad_perm:[2,2,2,2] row_mask:0xf bank_mask:0xf// 00000000BFD4: 0AE4E4FA FF00AAF8
	v_mul_f32_dpp v115, v248, v115 quad_perm:[3,3,3,3] row_mask:0xf bank_mask:0xf// 00000000BFDC: 0AE6E6FA FF00FFF8
	v_mul_f32_dpp v116, v249, v116 quad_perm:[0,0,0,0] row_mask:0xf bank_mask:0xf// 00000000BFE4: 0AE8E8FA FF0000F9
	v_mul_f32_dpp v117, v249, v117 quad_perm:[1,1,1,1] row_mask:0xf bank_mask:0xf// 00000000BFEC: 0AEAEAFA FF0055F9
	v_mul_f32_dpp v118, v249, v118 quad_perm:[2,2,2,2] row_mask:0xf bank_mask:0xf// 00000000BFF4: 0AECECFA FF00AAF9
	v_mul_f32_dpp v119, v249, v119 quad_perm:[3,3,3,3] row_mask:0xf bank_mask:0xf// 00000000BFFC: 0AEEEEFA FF00FFF9
	v_mul_f32_dpp v120, v250, v120 quad_perm:[0,0,0,0] row_mask:0xf bank_mask:0xf// 00000000C004: 0AF0F0FA FF0000FA
	v_mul_f32_dpp v121, v250, v121 quad_perm:[1,1,1,1] row_mask:0xf bank_mask:0xf// 00000000C00C: 0AF2F2FA FF0055FA
	v_mul_f32_dpp v122, v250, v122 quad_perm:[2,2,2,2] row_mask:0xf bank_mask:0xf// 00000000C014: 0AF4F4FA FF00AAFA
	v_mul_f32_dpp v123, v250, v123 quad_perm:[3,3,3,3] row_mask:0xf bank_mask:0xf// 00000000C01C: 0AF6F6FA FF00FFFA
	v_mul_f32_dpp v124, v251, v124 quad_perm:[0,0,0,0] row_mask:0xf bank_mask:0xf// 00000000C024: 0AF8F8FA FF0000FB
	v_mul_f32_dpp v125, v251, v125 quad_perm:[1,1,1,1] row_mask:0xf bank_mask:0xf// 00000000C02C: 0AFAFAFA FF0055FB
	v_mul_f32_dpp v126, v251, v126 quad_perm:[2,2,2,2] row_mask:0xf bank_mask:0xf// 00000000C034: 0AFCFCFA FF00AAFB
	v_mul_f32_dpp v127, v251, v127 quad_perm:[3,3,3,3] row_mask:0xf bank_mask:0xf// 00000000C03C: 0AFEFEFA FF00FFFB
	s_and_b32 s60, s72, 0xff                                   // 00000000C044: 863CFF48 000000FF
	v_mov_b32_e32 v65, s60                                     // 00000000C04C: 7E82023C
	v_lshrrev_b32_e32 v240, 4, v0                              // 00000000C050: 21E00084
	v_mul_i32_i24_e32 v240, 4, v240                            // 00000000C054: 0DE1E084
	s_mul_i32 s60, s7, 16                                      // 00000000C058: 923C9007
	v_add_u32_e32 v240, s60, v240                              // 00000000C05C: 69E1E03C
	v_add_u32_e32 v241, 1, v240                                // 00000000C060: 69E3E081
	v_add_u32_e32 v242, 2, v240                                // 00000000C064: 69E5E082
	v_add_u32_e32 v243, 3, v240                                // 00000000C068: 69E7E083
	v_mov_b32_e32 v64, 0xff800000                              // 00000000C06C: 7E8002FF FF800000
	v_cmp_lt_u32_e64 s[40:41], v240, v65                       // 00000000C074: D0C90028 000283F0
	v_add_u32_e32 v240, 64, v240                               // 00000000C07C: 69E1E0C0
	s_nop 0                                                    // 00000000C080: BF800000
	v_cndmask_b32_e64 v112, v64, v112, s[40:41]                // 00000000C084: D1000070 00A2E140
	v_cmp_lt_u32_e64 s[40:41], v241, v65                       // 00000000C08C: D0C90028 000283F1
	v_add_u32_e32 v241, 64, v241                               // 00000000C094: 69E3E2C0
	s_nop 0                                                    // 00000000C098: BF800000
	v_cndmask_b32_e64 v113, v64, v113, s[40:41]                // 00000000C09C: D1000071 00A2E340
	v_cmp_lt_u32_e64 s[40:41], v242, v65                       // 00000000C0A4: D0C90028 000283F2
	v_add_u32_e32 v242, 64, v242                               // 00000000C0AC: 69E5E4C0
	s_nop 0                                                    // 00000000C0B0: BF800000
	v_cndmask_b32_e64 v114, v64, v114, s[40:41]                // 00000000C0B4: D1000072 00A2E540
	v_cmp_lt_u32_e64 s[40:41], v243, v65                       // 00000000C0BC: D0C90028 000283F3
	v_add_u32_e32 v243, 64, v243                               // 00000000C0C4: 69E7E6C0
	s_nop 0                                                    // 00000000C0C8: BF800000
	v_cndmask_b32_e64 v115, v64, v115, s[40:41]                // 00000000C0CC: D1000073 00A2E740
	v_cmp_lt_u32_e64 s[40:41], v240, v65                       // 00000000C0D4: D0C90028 000283F0
	v_add_u32_e32 v240, 64, v240                               // 00000000C0DC: 69E1E0C0
	s_nop 0                                                    // 00000000C0E0: BF800000
	v_cndmask_b32_e64 v116, v64, v116, s[40:41]                // 00000000C0E4: D1000074 00A2E940
	v_cmp_lt_u32_e64 s[40:41], v241, v65                       // 00000000C0EC: D0C90028 000283F1
	v_add_u32_e32 v241, 64, v241                               // 00000000C0F4: 69E3E2C0
	s_nop 0                                                    // 00000000C0F8: BF800000
	v_cndmask_b32_e64 v117, v64, v117, s[40:41]                // 00000000C0FC: D1000075 00A2EB40
	v_cmp_lt_u32_e64 s[40:41], v242, v65                       // 00000000C104: D0C90028 000283F2
	v_add_u32_e32 v242, 64, v242                               // 00000000C10C: 69E5E4C0
	s_nop 0                                                    // 00000000C110: BF800000
	v_cndmask_b32_e64 v118, v64, v118, s[40:41]                // 00000000C114: D1000076 00A2ED40
	v_cmp_lt_u32_e64 s[40:41], v243, v65                       // 00000000C11C: D0C90028 000283F3
	v_add_u32_e32 v243, 64, v243                               // 00000000C124: 69E7E6C0
	s_nop 0                                                    // 00000000C128: BF800000
	v_cndmask_b32_e64 v119, v64, v119, s[40:41]                // 00000000C12C: D1000077 00A2EF40
	v_cmp_lt_u32_e64 s[40:41], v240, v65                       // 00000000C134: D0C90028 000283F0
	v_add_u32_e32 v240, 64, v240                               // 00000000C13C: 69E1E0C0
	s_nop 0                                                    // 00000000C140: BF800000
	v_cndmask_b32_e64 v120, v64, v120, s[40:41]                // 00000000C144: D1000078 00A2F140
	v_cmp_lt_u32_e64 s[40:41], v241, v65                       // 00000000C14C: D0C90028 000283F1
	v_add_u32_e32 v241, 64, v241                               // 00000000C154: 69E3E2C0
	s_nop 0                                                    // 00000000C158: BF800000
	v_cndmask_b32_e64 v121, v64, v121, s[40:41]                // 00000000C15C: D1000079 00A2F340
	v_cmp_lt_u32_e64 s[40:41], v242, v65                       // 00000000C164: D0C90028 000283F2
	v_add_u32_e32 v242, 64, v242                               // 00000000C16C: 69E5E4C0
	s_nop 0                                                    // 00000000C170: BF800000
	v_cndmask_b32_e64 v122, v64, v122, s[40:41]                // 00000000C174: D100007A 00A2F540
	v_cmp_lt_u32_e64 s[40:41], v243, v65                       // 00000000C17C: D0C90028 000283F3
	v_add_u32_e32 v243, 64, v243                               // 00000000C184: 69E7E6C0
	s_nop 0                                                    // 00000000C188: BF800000
	v_cndmask_b32_e64 v123, v64, v123, s[40:41]                // 00000000C18C: D100007B 00A2F740
	v_cmp_lt_u32_e64 s[40:41], v240, v65                       // 00000000C194: D0C90028 000283F0
	v_add_u32_e32 v240, 64, v240                               // 00000000C19C: 69E1E0C0
	s_nop 0                                                    // 00000000C1A0: BF800000
	v_cndmask_b32_e64 v124, v64, v124, s[40:41]                // 00000000C1A4: D100007C 00A2F940
	v_cmp_lt_u32_e64 s[40:41], v241, v65                       // 00000000C1AC: D0C90028 000283F1
	v_add_u32_e32 v241, 64, v241                               // 00000000C1B4: 69E3E2C0
	s_nop 0                                                    // 00000000C1B8: BF800000
	v_cndmask_b32_e64 v125, v64, v125, s[40:41]                // 00000000C1BC: D100007D 00A2FB40
	v_cmp_lt_u32_e64 s[40:41], v242, v65                       // 00000000C1C4: D0C90028 000283F2
	v_add_u32_e32 v242, 64, v242                               // 00000000C1CC: 69E5E4C0
	s_nop 0                                                    // 00000000C1D0: BF800000
	v_cndmask_b32_e64 v126, v64, v126, s[40:41]                // 00000000C1D4: D100007E 00A2FD40
	v_cmp_lt_u32_e64 s[40:41], v243, v65                       // 00000000C1DC: D0C90028 000283F3
	v_add_u32_e32 v243, 64, v243                               // 00000000C1E4: 69E7E6C0
	s_nop 0                                                    // 00000000C1E8: BF800000
	v_cndmask_b32_e64 v127, v64, v127, s[40:41]                // 00000000C1EC: D100007F 00A2FF40
	v_mov_b32_e32 v48, v112                                    // 00000000C1F4: 7E600370
	v_max3_f32 v48, v112, v113, v48                            // 00000000C1F8: D1D30030 04C2E370
	v_max3_f32 v48, v114, v115, v48                            // 00000000C200: D1D30030 04C2E772
	v_max3_f32 v48, v116, v117, v48                            // 00000000C208: D1D30030 04C2EB74
	v_max3_f32 v48, v118, v119, v48                            // 00000000C210: D1D30030 04C2EF76
	v_max3_f32 v48, v120, v121, v48                            // 00000000C218: D1D30030 04C2F378
	v_max3_f32 v48, v122, v123, v48                            // 00000000C220: D1D30030 04C2F77A
	v_max3_f32 v48, v124, v125, v48                            // 00000000C228: D1D30030 04C2FB7C
	v_max3_f32 v48, v126, v127, v48                            // 00000000C230: D1D30030 04C2FF7E
	ds_write_b32 v8, v48 offset:16896                          // 00000000C238: D81A4200 00003008
	v_mul_u32_u24_dpp v64, v17, v54 row_newbcast:1 row_mask:0xf bank_mask:0xf// 00000000C240: 10806CFA FF015111
	v_mul_u32_u24_dpp v65, v17, v54 row_newbcast:5 row_mask:0xf bank_mask:0xf// 00000000C248: 10826CFA FF015511
	v_mul_u32_u24_dpp v66, v17, v54 row_newbcast:9 row_mask:0xf bank_mask:0xf// 00000000C250: 10846CFA FF015911
	v_mul_u32_u24_dpp v67, v17, v54 row_newbcast:13 row_mask:0xf bank_mask:0xf// 00000000C258: 10866CFA FF015D11
	v_add_u32_e32 v34, v64, v6                                 // 00000000C260: 68440D40
	v_add_u32_e32 v35, v65, v6                                 // 00000000C264: 68460D41
	v_add_u32_e32 v36, v66, v6                                 // 00000000C268: 68480D42
	v_add_u32_e32 v37, v67, v6                                 // 00000000C26C: 684A0D43
	v_mul_f32_e32 v208, v49, v208                              // 00000000C270: 0BA1A131
	v_mul_f32_e32 v209, v49, v209                              // 00000000C274: 0BA3A331
	v_mul_f32_e32 v210, v49, v210                              // 00000000C278: 0BA5A531
	v_mul_f32_e32 v211, v49, v211                              // 00000000C27C: 0BA7A731
	v_mul_f32_e32 v212, v49, v212                              // 00000000C280: 0BA9A931
	v_mul_f32_e32 v213, v49, v213                              // 00000000C284: 0BABAB31
	v_mul_f32_e32 v214, v49, v214                              // 00000000C288: 0BADAD31
	v_mul_f32_e32 v215, v49, v215                              // 00000000C28C: 0BAFAF31
	s_waitcnt lgkmcnt(0)                                       // 00000000C290: BF8CC07F
	s_barrier                                                  // 00000000C294: BF8A0000
	ds_read_b32 v64, v7 offset:16896                           // 00000000C298: D86C4200 40000007
	ds_read_b32 v65, v7 offset:16960                           // 00000000C2A0: D86C4240 41000007
	ds_read_b32 v66, v7 offset:17024                           // 00000000C2A8: D86C4280 42000007
	ds_read_b32 v67, v7 offset:17088                           // 00000000C2B0: D86C42C0 43000007
	ds_read_b32 v68, v7 offset:17152                           // 00000000C2B8: D86C4300 44000007
	ds_read_b32 v69, v7 offset:17216                           // 00000000C2C0: D86C4340 45000007
	ds_read_b32 v70, v7 offset:17280                           // 00000000C2C8: D86C4380 46000007
	ds_read_b32 v71, v7 offset:17344                           // 00000000C2D0: D86C43C0 47000007
	ds_read_b32 v72, v7 offset:17408                           // 00000000C2D8: D86C4400 48000007
	ds_read_b32 v73, v7 offset:17472                           // 00000000C2E0: D86C4440 49000007
	ds_read_b32 v74, v7 offset:17536                           // 00000000C2E8: D86C4480 4A000007
	ds_read_b32 v75, v7 offset:17600                           // 00000000C2F0: D86C44C0 4B000007
	ds_read_b32 v76, v7 offset:17664                           // 00000000C2F8: D86C4500 4C000007
	ds_read_b32 v77, v7 offset:17728                           // 00000000C300: D86C4540 4D000007
	ds_read_b32 v78, v7 offset:17792                           // 00000000C308: D86C4580 4E000007
	ds_read_b32 v79, v7 offset:17856                           // 00000000C310: D86C45C0 4F000007
	v_cvt_f32_i32_e32 v176, v176                               // 00000000C318: 7F600BB0
	v_cvt_f32_i32_e32 v177, v177                               // 00000000C31C: 7F620BB1
	v_cvt_f32_i32_e32 v178, v178                               // 00000000C320: 7F640BB2
	v_cvt_f32_i32_e32 v179, v179                               // 00000000C324: 7F660BB3
	v_cvt_f32_i32_e32 v180, v180                               // 00000000C328: 7F680BB4
	v_cvt_f32_i32_e32 v181, v181                               // 00000000C32C: 7F6A0BB5
	v_cvt_f32_i32_e32 v182, v182                               // 00000000C330: 7F6C0BB6
	v_cvt_f32_i32_e32 v183, v183                               // 00000000C334: 7F6E0BB7
	v_mul_f32_e32 v176, v44, v176                              // 00000000C338: 0B61612C
	v_mul_f32_e32 v177, v44, v177                              // 00000000C33C: 0B63632C
	v_mul_f32_e32 v178, v44, v178                              // 00000000C340: 0B65652C
	v_mul_f32_e32 v179, v44, v179                              // 00000000C344: 0B67672C
	v_mul_f32_e32 v180, v44, v180                              // 00000000C348: 0B69692C
	v_mul_f32_e32 v181, v44, v181                              // 00000000C34C: 0B6B6B2C
	v_mul_f32_e32 v182, v44, v182                              // 00000000C350: 0B6D6D2C
	v_mul_f32_e32 v183, v44, v183                              // 00000000C354: 0B6F6F2C
	s_waitcnt lgkmcnt(0)                                       // 00000000C358: BF8CC07F
	v_max3_f32 v48, v64, v65, v48                              // 00000000C35C: D1D30030 04C28340
	v_max3_f32 v48, v66, v67, v48                              // 00000000C364: D1D30030 04C28742
	v_max3_f32 v48, v68, v69, v48                              // 00000000C36C: D1D30030 04C28B44
	v_max3_f32 v48, v70, v71, v48                              // 00000000C374: D1D30030 04C28F46
	v_max3_f32 v48, v72, v73, v48                              // 00000000C37C: D1D30030 04C29348
	v_max3_f32 v48, v74, v75, v48                              // 00000000C384: D1D30030 04C2974A
	v_max3_f32 v48, v76, v77, v48                              // 00000000C38C: D1D30030 04C29B4C
	v_max3_f32 v48, v78, v79, v48                              // 00000000C394: D1D30030 04C29F4E
	v_mov_b32_e32 v64, 0xff800000                              // 00000000C39C: 7E8002FF FF800000
	v_cmp_eq_u32_e64 s[40:41], v64, v11                        // 00000000C3A4: D0CA0028 00021740
	s_nop 1                                                    // 00000000C3AC: BF800001
	v_max_f32_e32 v15, v48, v11                                // 00000000C3B0: 161E1730
	v_mul_f32_e32 v53, s64, v15                                // 00000000C3B4: 0A6A1E40
	v_fma_f32 v112, v112, s64, -v53                            // 00000000C3B8: D1CB0070 84D48170
	v_fma_f32 v113, v113, s64, -v53                            // 00000000C3C0: D1CB0071 84D48171
	v_fma_f32 v114, v114, s64, -v53                            // 00000000C3C8: D1CB0072 84D48172
	v_fma_f32 v115, v115, s64, -v53                            // 00000000C3D0: D1CB0073 84D48173
	v_fma_f32 v116, v116, s64, -v53                            // 00000000C3D8: D1CB0074 84D48174
	v_fma_f32 v117, v117, s64, -v53                            // 00000000C3E0: D1CB0075 84D48175
	v_fma_f32 v118, v118, s64, -v53                            // 00000000C3E8: D1CB0076 84D48176
	v_fma_f32 v119, v119, s64, -v53                            // 00000000C3F0: D1CB0077 84D48177
	v_fma_f32 v120, v120, s64, -v53                            // 00000000C3F8: D1CB0078 84D48178
	v_fma_f32 v121, v121, s64, -v53                            // 00000000C400: D1CB0079 84D48179
	v_fma_f32 v122, v122, s64, -v53                            // 00000000C408: D1CB007A 84D4817A
	v_fma_f32 v123, v123, s64, -v53                            // 00000000C410: D1CB007B 84D4817B
	v_fma_f32 v124, v124, s64, -v53                            // 00000000C418: D1CB007C 84D4817C
	v_fma_f32 v125, v125, s64, -v53                            // 00000000C420: D1CB007D 84D4817D
	v_fma_f32 v126, v126, s64, -v53                            // 00000000C428: D1CB007E 84D4817E
	v_fma_f32 v127, v127, s64, -v53                            // 00000000C430: D1CB007F 84D4817F
	v_exp_f32_e32 v112, v112                                   // 00000000C438: 7EE04170
	v_exp_f32_e32 v113, v113                                   // 00000000C43C: 7EE24171
	v_exp_f32_e32 v114, v114                                   // 00000000C440: 7EE44172
	v_exp_f32_e32 v115, v115                                   // 00000000C444: 7EE64173
	v_exp_f32_e32 v116, v116                                   // 00000000C448: 7EE84174
	v_exp_f32_e32 v117, v117                                   // 00000000C44C: 7EEA4175
	v_exp_f32_e32 v118, v118                                   // 00000000C450: 7EEC4176
	v_exp_f32_e32 v119, v119                                   // 00000000C454: 7EEE4177
	v_exp_f32_e32 v120, v120                                   // 00000000C458: 7EF04178
	v_exp_f32_e32 v121, v121                                   // 00000000C45C: 7EF24179
	v_exp_f32_e32 v122, v122                                   // 00000000C460: 7EF4417A
	v_exp_f32_e32 v123, v123                                   // 00000000C464: 7EF6417B
	v_exp_f32_e32 v124, v124                                   // 00000000C468: 7EF8417C
	v_exp_f32_e32 v125, v125                                   // 00000000C46C: 7EFA417D
	v_exp_f32_e32 v126, v126                                   // 00000000C470: 7EFC417E
	v_exp_f32_e32 v127, v127                                   // 00000000C474: 7EFE417F
	v_mul_f32_dpp v240, v252, v112 quad_perm:[0,0,0,0] row_mask:0xf bank_mask:0xf// 00000000C478: 0BE0E0FA FF0000FC
	v_mul_f32_dpp v241, v252, v113 quad_perm:[1,1,1,1] row_mask:0xf bank_mask:0xf// 00000000C480: 0BE2E2FA FF0055FC
	v_mul_f32_dpp v242, v252, v114 quad_perm:[2,2,2,2] row_mask:0xf bank_mask:0xf// 00000000C488: 0BE4E4FA FF00AAFC
	v_mul_f32_dpp v243, v252, v115 quad_perm:[3,3,3,3] row_mask:0xf bank_mask:0xf// 00000000C490: 0BE6E6FA FF00FFFC
	v_mul_f32_dpp v244, v253, v116 quad_perm:[0,0,0,0] row_mask:0xf bank_mask:0xf// 00000000C498: 0BE8E8FA FF0000FD
	v_mul_f32_dpp v245, v253, v117 quad_perm:[1,1,1,1] row_mask:0xf bank_mask:0xf// 00000000C4A0: 0BEAEAFA FF0055FD
	v_mul_f32_dpp v246, v253, v118 quad_perm:[2,2,2,2] row_mask:0xf bank_mask:0xf// 00000000C4A8: 0BECECFA FF00AAFD
	v_mul_f32_dpp v247, v253, v119 quad_perm:[3,3,3,3] row_mask:0xf bank_mask:0xf// 00000000C4B0: 0BEEEEFA FF00FFFD
	v_mul_f32_dpp v248, v254, v120 quad_perm:[0,0,0,0] row_mask:0xf bank_mask:0xf// 00000000C4B8: 0BF0F0FA FF0000FE
	v_mul_f32_dpp v249, v254, v121 quad_perm:[1,1,1,1] row_mask:0xf bank_mask:0xf// 00000000C4C0: 0BF2F2FA FF0055FE
	v_mul_f32_dpp v250, v254, v122 quad_perm:[2,2,2,2] row_mask:0xf bank_mask:0xf// 00000000C4C8: 0BF4F4FA FF00AAFE
	v_mul_f32_dpp v251, v254, v123 quad_perm:[3,3,3,3] row_mask:0xf bank_mask:0xf// 00000000C4D0: 0BF6F6FA FF00FFFE
	v_mul_f32_dpp v252, v255, v124 quad_perm:[0,0,0,0] row_mask:0xf bank_mask:0xf// 00000000C4D8: 0BF8F8FA FF0000FF
	v_mul_f32_dpp v253, v255, v125 quad_perm:[1,1,1,1] row_mask:0xf bank_mask:0xf// 00000000C4E0: 0BFAFAFA FF0055FF
	v_mul_f32_dpp v254, v255, v126 quad_perm:[2,2,2,2] row_mask:0xf bank_mask:0xf// 00000000C4E8: 0BFCFCFA FF00AAFF
	v_mul_f32_dpp v255, v255, v127 quad_perm:[3,3,3,3] row_mask:0xf bank_mask:0xf// 00000000C4F0: 0BFEFEFA FF00FFFF
	v_mov_b32_e32 v48, 0x358637bd                              // 00000000C4F8: 7E6002FF 358637BD
	v_max3_f32 v48, |v240|, |v241|, v48                        // 00000000C500: D1D30330 04C3E3F0
	v_max3_f32 v48, |v242|, |v243|, v48                        // 00000000C508: D1D30330 04C3E7F2
	v_max3_f32 v48, |v244|, |v245|, v48                        // 00000000C510: D1D30330 04C3EBF4
	v_max3_f32 v48, |v246|, |v247|, v48                        // 00000000C518: D1D30330 04C3EFF6
	v_max3_f32 v48, |v248|, |v249|, v48                        // 00000000C520: D1D30330 04C3F3F8
	v_max3_f32 v48, |v250|, |v251|, v48                        // 00000000C528: D1D30330 04C3F7FA
	v_max3_f32 v48, |v252|, |v253|, v48                        // 00000000C530: D1D30330 04C3FBFC
	v_max3_f32 v48, |v254|, |v255|, v48                        // 00000000C538: D1D30330 04C3FFFE
	ds_write_b32 v8, v48 offset:20992                          // 00000000C540: D81A5200 00003008
	v_sub_f32_e32 v49, v11, v15                                // 00000000C548: 04621F0B
	v_cndmask_b32_e64 v49, v49, 0, s[40:41]                    // 00000000C54C: D1000031 00A10131
	v_mov_b32_e32 v11, v15                                     // 00000000C554: 7E16030F
	v_mul_f32_e32 v49, s64, v49                                // 00000000C558: 0A626240
	v_exp_f32_e32 v49, v49                                     // 00000000C55C: 7E624131
	s_waitcnt lgkmcnt(0)                                       // 00000000C560: BF8CC07F
	s_barrier                                                  // 00000000C564: BF8A0000
	ds_read_b32 v64, v7 offset:20992                           // 00000000C568: D86C5200 40000007
	ds_read_b32 v65, v7 offset:21056                           // 00000000C570: D86C5240 41000007
	ds_read_b32 v66, v7 offset:21120                           // 00000000C578: D86C5280 42000007
	ds_read_b32 v67, v7 offset:21184                           // 00000000C580: D86C52C0 43000007
	ds_read_b32 v68, v7 offset:21248                           // 00000000C588: D86C5300 44000007
	ds_read_b32 v69, v7 offset:21312                           // 00000000C590: D86C5340 45000007
	ds_read_b32 v70, v7 offset:21376                           // 00000000C598: D86C5380 46000007
	ds_read_b32 v71, v7 offset:21440                           // 00000000C5A0: D86C53C0 47000007
	ds_read_b32 v72, v7 offset:21504                           // 00000000C5A8: D86C5400 48000007
	ds_read_b32 v73, v7 offset:21568                           // 00000000C5B0: D86C5440 49000007
	ds_read_b32 v74, v7 offset:21632                           // 00000000C5B8: D86C5480 4A000007
	ds_read_b32 v75, v7 offset:21696                           // 00000000C5C0: D86C54C0 4B000007
	ds_read_b32 v76, v7 offset:21760                           // 00000000C5C8: D86C5500 4C000007
	ds_read_b32 v77, v7 offset:21824                           // 00000000C5D0: D86C5540 4D000007
	ds_read_b32 v78, v7 offset:21888                           // 00000000C5D8: D86C5580 4E000007
	ds_read_b32 v79, v7 offset:21952                           // 00000000C5E0: D86C55C0 4F000007
	v_mul_f32_e32 v38, v49, v38                                // 00000000C5E8: 0A4C4D31
	v_mov_b32_e32 v15, v112                                    // 00000000C5EC: 7E1E0370
	v_add_f32_e32 v15, v113, v15                               // 00000000C5F0: 021E1F71
	v_add_f32_e32 v15, v114, v15                               // 00000000C5F4: 021E1F72
	v_add_f32_e32 v15, v115, v15                               // 00000000C5F8: 021E1F73
	v_add_f32_e32 v15, v116, v15                               // 00000000C5FC: 021E1F74
	v_add_f32_e32 v15, v117, v15                               // 00000000C600: 021E1F75
	v_add_f32_e32 v15, v118, v15                               // 00000000C604: 021E1F76
	v_add_f32_e32 v15, v119, v15                               // 00000000C608: 021E1F77
	v_add_f32_e32 v15, v120, v15                               // 00000000C60C: 021E1F78
	v_add_f32_e32 v15, v121, v15                               // 00000000C610: 021E1F79
	v_add_f32_e32 v15, v122, v15                               // 00000000C614: 021E1F7A
	v_add_f32_e32 v15, v123, v15                               // 00000000C618: 021E1F7B
	v_add_f32_e32 v15, v124, v15                               // 00000000C61C: 021E1F7C
	v_add_f32_e32 v15, v125, v15                               // 00000000C620: 021E1F7D
	v_add_f32_e32 v15, v126, v15                               // 00000000C624: 021E1F7E
	v_add_f32_e32 v15, v127, v15                               // 00000000C628: 021E1F7F
	v_add_f32_e32 v38, v15, v38                                // 00000000C62C: 024C4D0F
	s_waitcnt lgkmcnt(0)                                       // 00000000C630: BF8CC07F
	v_max3_f32 v48, |v64|, |v65|, v48                          // 00000000C634: D1D30330 04C28340
	v_max3_f32 v48, |v66|, |v67|, v48                          // 00000000C63C: D1D30330 04C28742
	v_max3_f32 v48, |v68|, |v69|, v48                          // 00000000C644: D1D30330 04C28B44
	v_max3_f32 v48, |v70|, |v71|, v48                          // 00000000C64C: D1D30330 04C28F46
	v_max3_f32 v48, |v72|, |v73|, v48                          // 00000000C654: D1D30330 04C29348
	v_max3_f32 v48, |v74|, |v75|, v48                          // 00000000C65C: D1D30330 04C2974A
	v_max3_f32 v48, |v76|, |v77|, v48                          // 00000000C664: D1D30330 04C29B4C
	v_max3_f32 v48, |v78|, |v79|, v48                          // 00000000C66C: D1D30330 04C29F4E
	s_nop 2                                                    // 00000000C674: BF800002
	v_rcp_f32_e32 v48, v48                                     // 00000000C678: 7E604530
	s_nop 1                                                    // 00000000C67C: BF800001
	v_mul_f32_e32 v48, 0x42fe0000, v48                         // 00000000C680: 0A6060FF 42FE0000
	v_mul_f32_e32 v112, v48, v240                              // 00000000C688: 0AE1E130
	v_mul_f32_e32 v113, v48, v241                              // 00000000C68C: 0AE3E330
	v_mul_f32_e32 v114, v48, v242                              // 00000000C690: 0AE5E530
	v_mul_f32_e32 v115, v48, v243                              // 00000000C694: 0AE7E730
	v_mul_f32_e32 v116, v48, v244                              // 00000000C698: 0AE9E930
	v_mul_f32_e32 v117, v48, v245                              // 00000000C69C: 0AEBEB30
	v_mul_f32_e32 v118, v48, v246                              // 00000000C6A0: 0AEDED30
	v_mul_f32_e32 v119, v48, v247                              // 00000000C6A4: 0AEFEF30
	v_mul_f32_e32 v120, v48, v248                              // 00000000C6A8: 0AF1F130
	v_mul_f32_e32 v121, v48, v249                              // 00000000C6AC: 0AF3F330
	v_mul_f32_e32 v122, v48, v250                              // 00000000C6B0: 0AF5F530
	v_mul_f32_e32 v123, v48, v251                              // 00000000C6B4: 0AF7F730
	v_mul_f32_e32 v124, v48, v252                              // 00000000C6B8: 0AF9F930
	v_mul_f32_e32 v125, v48, v253                              // 00000000C6BC: 0AFBFB30
	v_mul_f32_e32 v126, v48, v254                              // 00000000C6C0: 0AFDFD30
	v_mul_f32_e32 v127, v48, v255                              // 00000000C6C4: 0AFFFF30
	v_cvt_i32_f32_e32 v112, v112                               // 00000000C6C8: 7EE01170
	v_cvt_i32_f32_e32 v113, v113                               // 00000000C6CC: 7EE21171
	v_cvt_i32_f32_e32 v114, v114                               // 00000000C6D0: 7EE41172
	v_cvt_i32_f32_e32 v115, v115                               // 00000000C6D4: 7EE61173
	v_cvt_i32_f32_e32 v116, v116                               // 00000000C6D8: 7EE81174
	v_cvt_i32_f32_e32 v117, v117                               // 00000000C6DC: 7EEA1175
	v_cvt_i32_f32_e32 v118, v118                               // 00000000C6E0: 7EEC1176
	v_cvt_i32_f32_e32 v119, v119                               // 00000000C6E4: 7EEE1177
	v_cvt_i32_f32_e32 v120, v120                               // 00000000C6E8: 7EF01178
	v_cvt_i32_f32_e32 v121, v121                               // 00000000C6EC: 7EF21179
	v_cvt_i32_f32_e32 v122, v122                               // 00000000C6F0: 7EF4117A
	v_cvt_i32_f32_e32 v123, v123                               // 00000000C6F4: 7EF6117B
	v_cvt_i32_f32_e32 v124, v124                               // 00000000C6F8: 7EF8117C
	v_cvt_i32_f32_e32 v125, v125                               // 00000000C6FC: 7EFA117D
	v_cvt_i32_f32_e32 v126, v126                               // 00000000C700: 7EFC117E
	v_cvt_i32_f32_e32 v127, v127                               // 00000000C704: 7EFE117F
	v_perm_b32 v112, v113, v112, s53                           // 00000000C708: D1ED0070 00D6E171
	v_perm_b32 v112, v114, v112, s54                           // 00000000C710: D1ED0070 00DAE172
	v_perm_b32 v112, v115, v112, s55                           // 00000000C718: D1ED0070 00DEE173
	v_perm_b32 v113, v117, v116, s53                           // 00000000C720: D1ED0071 00D6E975
	v_perm_b32 v113, v118, v113, s54                           // 00000000C728: D1ED0071 00DAE376
	v_perm_b32 v113, v119, v113, s55                           // 00000000C730: D1ED0071 00DEE377
	v_perm_b32 v114, v121, v120, s53                           // 00000000C738: D1ED0072 00D6F179
	v_perm_b32 v114, v122, v114, s54                           // 00000000C740: D1ED0072 00DAE57A
	v_perm_b32 v114, v123, v114, s55                           // 00000000C748: D1ED0072 00DEE57B
	v_perm_b32 v115, v125, v124, s53                           // 00000000C750: D1ED0073 00D6F97D
	v_perm_b32 v115, v126, v115, s54                           // 00000000C758: D1ED0073 00DAE77E
	v_perm_b32 v115, v127, v115, s55                           // 00000000C760: D1ED0073 00DEE77F
	ds_write_b32 v10, v112 offset:25088                        // 00000000C768: D81A6200 0000700A
	ds_write_b32 v10, v113 offset:26112                        // 00000000C770: D81A6600 0000710A
	ds_write_b32 v10, v114 offset:27136                        // 00000000C778: D81A6A00 0000720A
	ds_write_b32 v10, v115 offset:28160                        // 00000000C780: D81A6E00 0000730A
	v_add_f32_e32 v208, v208, v176                             // 00000000C788: 03A161D0
	v_add_f32_e32 v209, v209, v177                             // 00000000C78C: 03A363D1
	v_add_f32_e32 v210, v210, v178                             // 00000000C790: 03A565D2
	v_add_f32_e32 v211, v211, v179                             // 00000000C794: 03A767D3
	v_add_f32_e32 v212, v212, v180                             // 00000000C798: 03A969D4
	v_add_f32_e32 v213, v213, v181                             // 00000000C79C: 03AB6BD5
	v_add_f32_e32 v214, v214, v182                             // 00000000C7A0: 03AD6DD6
	v_add_f32_e32 v215, v215, v183                             // 00000000C7A4: 03AF6FD7
	v_rcp_f32_e32 v44, v48                                     // 00000000C7A8: 7E584530
	s_waitcnt lgkmcnt(0)                                       // 00000000C7AC: BF8CC07F
	s_barrier                                                  // 00000000C7B0: BF8A0000
	ds_read_b64 v[112:113], v9 offset:25088                    // 00000000C7B4: D8EC6200 70000009
	ds_read_b64 v[114:115], v9 offset:25216                    // 00000000C7BC: D8EC6280 72000009
	ds_read_b64 v[116:117], v9 offset:26112                    // 00000000C7C4: D8EC6600 74000009
	ds_read_b64 v[118:119], v9 offset:26240                    // 00000000C7CC: D8EC6680 76000009
	ds_read_b64 v[120:121], v9 offset:27136                    // 00000000C7D4: D8EC6A00 78000009
	ds_read_b64 v[122:123], v9 offset:27264                    // 00000000C7DC: D8EC6A80 7A000009
	ds_read_b64 v[124:125], v9 offset:28160                    // 00000000C7E4: D8EC6E00 7C000009
	ds_read_b64 v[126:127], v9 offset:28288                    // 00000000C7EC: D8EC6E80 7E000009
	v_mov_b32_dpp v64, v42 row_shr:4 row_mask:0xf bank_mask:0xf// 00000000C7F4: 7E8002FA FF01142A
	v_mov_b32_dpp v65, v42 row_shl:4 row_mask:0xf bank_mask:0xf// 00000000C7FC: 7E8202FA FF01042A
	v_cndmask_b32_e64 v248, v42, v64, s[44:45]                 // 00000000C804: D10000F8 00B2812A
	v_cndmask_b32_e64 v249, v65, v42, s[44:45]                 // 00000000C80C: D10000F9 00B25541
	v_mov_b32_dpp v64, v248 row_shr:8 row_mask:0xf bank_mask:0xf// 00000000C814: 7E8002FA FF0118F8
	v_mov_b32_dpp v65, v248 row_shl:8 row_mask:0xf bank_mask:0xf// 00000000C81C: 7E8202FA FF0108F8
	v_mov_b32_dpp v66, v249 row_shr:8 row_mask:0xf bank_mask:0xf// 00000000C824: 7E8402FA FF0118F9
	v_mov_b32_dpp v67, v249 row_shl:8 row_mask:0xf bank_mask:0xf// 00000000C82C: 7E8602FA FF0108F9
	v_mov_b32_e32 v68, v248                                    // 00000000C834: 7E8803F8
	v_mov_b32_e32 v69, v249                                    // 00000000C838: 7E8A03F9
	v_cndmask_b32_e64 v248, v68, v64, s[42:43]                 // 00000000C83C: D10000F8 00AA8144
	v_cndmask_b32_e64 v250, v68, v65, s[78:79]                 // 00000000C844: D10000FA 013A8344
	v_cndmask_b32_e64 v249, v69, v66, s[42:43]                 // 00000000C84C: D10000F9 00AA8545
	v_cndmask_b32_e64 v251, v69, v67, s[78:79]                 // 00000000C854: D10000FB 013A8745
	v_mov_b32_dpp v64, v57 row_shr:4 row_mask:0xf bank_mask:0xf// 00000000C85C: 7E8002FA FF011439
	v_mov_b32_dpp v65, v57 row_shl:4 row_mask:0xf bank_mask:0xf// 00000000C864: 7E8202FA FF010439
	v_cndmask_b32_e64 v252, v57, v64, s[44:45]                 // 00000000C86C: D10000FC 00B28139
	v_cndmask_b32_e64 v253, v65, v57, s[44:45]                 // 00000000C874: D10000FD 00B27341
	v_mov_b32_dpp v64, v252 row_shr:8 row_mask:0xf bank_mask:0xf// 00000000C87C: 7E8002FA FF0118FC
	v_mov_b32_dpp v65, v252 row_shl:8 row_mask:0xf bank_mask:0xf// 00000000C884: 7E8202FA FF0108FC
	v_mov_b32_dpp v66, v253 row_shr:8 row_mask:0xf bank_mask:0xf// 00000000C88C: 7E8402FA FF0118FD
	v_mov_b32_dpp v67, v253 row_shl:8 row_mask:0xf bank_mask:0xf// 00000000C894: 7E8602FA FF0108FD
	v_mov_b32_e32 v68, v252                                    // 00000000C89C: 7E8803FC
	v_mov_b32_e32 v69, v253                                    // 00000000C8A0: 7E8A03FD
	v_cndmask_b32_e64 v252, v68, v64, s[42:43]                 // 00000000C8A4: D10000FC 00AA8144
	v_cndmask_b32_e64 v254, v68, v65, s[78:79]                 // 00000000C8AC: D10000FE 013A8344
	v_cndmask_b32_e64 v253, v69, v66, s[42:43]                 // 00000000C8B4: D10000FD 00AA8545
	v_cndmask_b32_e64 v255, v69, v67, s[78:79]                 // 00000000C8BC: D10000FF 013A8745
	v_cvt_f32_i32_e32 v128, v128                               // 00000000C8C4: 7F000B80
	v_cvt_f32_i32_e32 v129, v129                               // 00000000C8C8: 7F020B81
	v_cvt_f32_i32_e32 v130, v130                               // 00000000C8CC: 7F040B82
	v_cvt_f32_i32_e32 v131, v131                               // 00000000C8D0: 7F060B83
	v_cvt_f32_i32_e32 v132, v132                               // 00000000C8D4: 7F080B84
	v_cvt_f32_i32_e32 v133, v133                               // 00000000C8D8: 7F0A0B85
	v_cvt_f32_i32_e32 v134, v134                               // 00000000C8DC: 7F0C0B86
	v_cvt_f32_i32_e32 v135, v135                               // 00000000C8E0: 7F0E0B87
	v_cvt_f32_i32_e32 v136, v136                               // 00000000C8E4: 7F100B88
	v_cvt_f32_i32_e32 v137, v137                               // 00000000C8E8: 7F120B89
	v_cvt_f32_i32_e32 v138, v138                               // 00000000C8EC: 7F140B8A
	v_cvt_f32_i32_e32 v139, v139                               // 00000000C8F0: 7F160B8B
	v_cvt_f32_i32_e32 v140, v140                               // 00000000C8F4: 7F180B8C
	v_cvt_f32_i32_e32 v141, v141                               // 00000000C8F8: 7F1A0B8D
	v_cvt_f32_i32_e32 v142, v142                               // 00000000C8FC: 7F1C0B8E
	v_cvt_f32_i32_e32 v143, v143                               // 00000000C900: 7F1E0B8F
	v_mul_f32_e32 v128, v19, v128                              // 00000000C904: 0B010113
	v_mul_f32_e32 v129, v19, v129                              // 00000000C908: 0B030313
	v_mul_f32_e32 v130, v19, v130                              // 00000000C90C: 0B050513
	v_mul_f32_e32 v131, v19, v131                              // 00000000C910: 0B070713
	v_mul_f32_e32 v132, v19, v132                              // 00000000C914: 0B090913
	v_mul_f32_e32 v133, v19, v133                              // 00000000C918: 0B0B0B13
	v_mul_f32_e32 v134, v19, v134                              // 00000000C91C: 0B0D0D13
	v_mul_f32_e32 v135, v19, v135                              // 00000000C920: 0B0F0F13
	v_mul_f32_e32 v136, v19, v136                              // 00000000C924: 0B111113
	v_mul_f32_e32 v137, v19, v137                              // 00000000C928: 0B131313
	v_mul_f32_e32 v138, v19, v138                              // 00000000C92C: 0B151513
	v_mul_f32_e32 v139, v19, v139                              // 00000000C930: 0B171713
	v_mul_f32_e32 v140, v19, v140                              // 00000000C934: 0B191913
	v_mul_f32_e32 v141, v19, v141                              // 00000000C938: 0B1B1B13
	v_mul_f32_e32 v142, v19, v142                              // 00000000C93C: 0B1D1D13
	v_mul_f32_e32 v143, v19, v143                              // 00000000C940: 0B1F1F13
	v_mul_f32_dpp v128, v248, v128 quad_perm:[0,0,0,0] row_mask:0xf bank_mask:0xf// 00000000C944: 0B0100FA FF0000F8
	v_mul_f32_dpp v129, v248, v129 quad_perm:[1,1,1,1] row_mask:0xf bank_mask:0xf// 00000000C94C: 0B0302FA FF0055F8
	v_mul_f32_dpp v130, v248, v130 quad_perm:[2,2,2,2] row_mask:0xf bank_mask:0xf// 00000000C954: 0B0504FA FF00AAF8
	v_mul_f32_dpp v131, v248, v131 quad_perm:[3,3,3,3] row_mask:0xf bank_mask:0xf// 00000000C95C: 0B0706FA FF00FFF8
	v_mul_f32_dpp v132, v249, v132 quad_perm:[0,0,0,0] row_mask:0xf bank_mask:0xf// 00000000C964: 0B0908FA FF0000F9
	v_mul_f32_dpp v133, v249, v133 quad_perm:[1,1,1,1] row_mask:0xf bank_mask:0xf// 00000000C96C: 0B0B0AFA FF0055F9
	v_mul_f32_dpp v134, v249, v134 quad_perm:[2,2,2,2] row_mask:0xf bank_mask:0xf// 00000000C974: 0B0D0CFA FF00AAF9
	v_mul_f32_dpp v135, v249, v135 quad_perm:[3,3,3,3] row_mask:0xf bank_mask:0xf// 00000000C97C: 0B0F0EFA FF00FFF9
	v_mul_f32_dpp v136, v250, v136 quad_perm:[0,0,0,0] row_mask:0xf bank_mask:0xf// 00000000C984: 0B1110FA FF0000FA
	v_mul_f32_dpp v137, v250, v137 quad_perm:[1,1,1,1] row_mask:0xf bank_mask:0xf// 00000000C98C: 0B1312FA FF0055FA
	v_mul_f32_dpp v138, v250, v138 quad_perm:[2,2,2,2] row_mask:0xf bank_mask:0xf// 00000000C994: 0B1514FA FF00AAFA
	v_mul_f32_dpp v139, v250, v139 quad_perm:[3,3,3,3] row_mask:0xf bank_mask:0xf// 00000000C99C: 0B1716FA FF00FFFA
	v_mul_f32_dpp v140, v251, v140 quad_perm:[0,0,0,0] row_mask:0xf bank_mask:0xf// 00000000C9A4: 0B1918FA FF0000FB
	v_mul_f32_dpp v141, v251, v141 quad_perm:[1,1,1,1] row_mask:0xf bank_mask:0xf// 00000000C9AC: 0B1B1AFA FF0055FB
	v_mul_f32_dpp v142, v251, v142 quad_perm:[2,2,2,2] row_mask:0xf bank_mask:0xf// 00000000C9B4: 0B1D1CFA FF00AAFB
	v_mul_f32_dpp v143, v251, v143 quad_perm:[3,3,3,3] row_mask:0xf bank_mask:0xf// 00000000C9BC: 0B1F1EFA FF00FFFB
	s_and_b32 s60, s72, 0xff                                   // 00000000C9C4: 863CFF48 000000FF
	v_mov_b32_e32 v65, s60                                     // 00000000C9CC: 7E82023C
	v_lshrrev_b32_e32 v240, 4, v0                              // 00000000C9D0: 21E00084
	v_mul_i32_i24_e32 v240, 4, v240                            // 00000000C9D4: 0DE1E084
	s_mul_i32 s60, s7, 16                                      // 00000000C9D8: 923C9007
	v_add_u32_e32 v240, s60, v240                              // 00000000C9DC: 69E1E03C
	v_add_u32_e32 v241, 1, v240                                // 00000000C9E0: 69E3E081
	v_add_u32_e32 v242, 2, v240                                // 00000000C9E4: 69E5E082
	v_add_u32_e32 v243, 3, v240                                // 00000000C9E8: 69E7E083
	v_mov_b32_e32 v64, 0xff800000                              // 00000000C9EC: 7E8002FF FF800000
	v_cmp_lt_u32_e64 s[40:41], v240, v65                       // 00000000C9F4: D0C90028 000283F0
	v_add_u32_e32 v240, 64, v240                               // 00000000C9FC: 69E1E0C0
	s_nop 0                                                    // 00000000CA00: BF800000
	v_cndmask_b32_e64 v128, v64, v128, s[40:41]                // 00000000CA04: D1000080 00A30140
	v_cmp_lt_u32_e64 s[40:41], v241, v65                       // 00000000CA0C: D0C90028 000283F1
	v_add_u32_e32 v241, 64, v241                               // 00000000CA14: 69E3E2C0
	s_nop 0                                                    // 00000000CA18: BF800000
	v_cndmask_b32_e64 v129, v64, v129, s[40:41]                // 00000000CA1C: D1000081 00A30340
	v_cmp_lt_u32_e64 s[40:41], v242, v65                       // 00000000CA24: D0C90028 000283F2
	v_add_u32_e32 v242, 64, v242                               // 00000000CA2C: 69E5E4C0
	s_nop 0                                                    // 00000000CA30: BF800000
	v_cndmask_b32_e64 v130, v64, v130, s[40:41]                // 00000000CA34: D1000082 00A30540
	v_cmp_lt_u32_e64 s[40:41], v243, v65                       // 00000000CA3C: D0C90028 000283F3
	v_add_u32_e32 v243, 64, v243                               // 00000000CA44: 69E7E6C0
	s_nop 0                                                    // 00000000CA48: BF800000
	v_cndmask_b32_e64 v131, v64, v131, s[40:41]                // 00000000CA4C: D1000083 00A30740
	v_cmp_lt_u32_e64 s[40:41], v240, v65                       // 00000000CA54: D0C90028 000283F0
	v_add_u32_e32 v240, 64, v240                               // 00000000CA5C: 69E1E0C0
	s_nop 0                                                    // 00000000CA60: BF800000
	v_cndmask_b32_e64 v132, v64, v132, s[40:41]                // 00000000CA64: D1000084 00A30940
	v_cmp_lt_u32_e64 s[40:41], v241, v65                       // 00000000CA6C: D0C90028 000283F1
	v_add_u32_e32 v241, 64, v241                               // 00000000CA74: 69E3E2C0
	s_nop 0                                                    // 00000000CA78: BF800000
	v_cndmask_b32_e64 v133, v64, v133, s[40:41]                // 00000000CA7C: D1000085 00A30B40
	v_cmp_lt_u32_e64 s[40:41], v242, v65                       // 00000000CA84: D0C90028 000283F2
	v_add_u32_e32 v242, 64, v242                               // 00000000CA8C: 69E5E4C0
	s_nop 0                                                    // 00000000CA90: BF800000
	v_cndmask_b32_e64 v134, v64, v134, s[40:41]                // 00000000CA94: D1000086 00A30D40
	v_cmp_lt_u32_e64 s[40:41], v243, v65                       // 00000000CA9C: D0C90028 000283F3
	v_add_u32_e32 v243, 64, v243                               // 00000000CAA4: 69E7E6C0
	s_nop 0                                                    // 00000000CAA8: BF800000
	v_cndmask_b32_e64 v135, v64, v135, s[40:41]                // 00000000CAAC: D1000087 00A30F40
	v_cmp_lt_u32_e64 s[40:41], v240, v65                       // 00000000CAB4: D0C90028 000283F0
	v_add_u32_e32 v240, 64, v240                               // 00000000CABC: 69E1E0C0
	s_nop 0                                                    // 00000000CAC0: BF800000
	v_cndmask_b32_e64 v136, v64, v136, s[40:41]                // 00000000CAC4: D1000088 00A31140
	v_cmp_lt_u32_e64 s[40:41], v241, v65                       // 00000000CACC: D0C90028 000283F1
	v_add_u32_e32 v241, 64, v241                               // 00000000CAD4: 69E3E2C0
	s_nop 0                                                    // 00000000CAD8: BF800000
	v_cndmask_b32_e64 v137, v64, v137, s[40:41]                // 00000000CADC: D1000089 00A31340
	v_cmp_lt_u32_e64 s[40:41], v242, v65                       // 00000000CAE4: D0C90028 000283F2
	v_add_u32_e32 v242, 64, v242                               // 00000000CAEC: 69E5E4C0
	s_nop 0                                                    // 00000000CAF0: BF800000
	v_cndmask_b32_e64 v138, v64, v138, s[40:41]                // 00000000CAF4: D100008A 00A31540
	v_cmp_lt_u32_e64 s[40:41], v243, v65                       // 00000000CAFC: D0C90028 000283F3
	v_add_u32_e32 v243, 64, v243                               // 00000000CB04: 69E7E6C0
	s_nop 0                                                    // 00000000CB08: BF800000
	v_cndmask_b32_e64 v139, v64, v139, s[40:41]                // 00000000CB0C: D100008B 00A31740
	v_cmp_lt_u32_e64 s[40:41], v240, v65                       // 00000000CB14: D0C90028 000283F0
	v_add_u32_e32 v240, 64, v240                               // 00000000CB1C: 69E1E0C0
	s_nop 0                                                    // 00000000CB20: BF800000
	v_cndmask_b32_e64 v140, v64, v140, s[40:41]                // 00000000CB24: D100008C 00A31940
	v_cmp_lt_u32_e64 s[40:41], v241, v65                       // 00000000CB2C: D0C90028 000283F1
	v_add_u32_e32 v241, 64, v241                               // 00000000CB34: 69E3E2C0
	s_nop 0                                                    // 00000000CB38: BF800000
	v_cndmask_b32_e64 v141, v64, v141, s[40:41]                // 00000000CB3C: D100008D 00A31B40
	v_cmp_lt_u32_e64 s[40:41], v242, v65                       // 00000000CB44: D0C90028 000283F2
	v_add_u32_e32 v242, 64, v242                               // 00000000CB4C: 69E5E4C0
	s_nop 0                                                    // 00000000CB50: BF800000
	v_cndmask_b32_e64 v142, v64, v142, s[40:41]                // 00000000CB54: D100008E 00A31D40
	v_cmp_lt_u32_e64 s[40:41], v243, v65                       // 00000000CB5C: D0C90028 000283F3
	v_add_u32_e32 v243, 64, v243                               // 00000000CB64: 69E7E6C0
	s_nop 0                                                    // 00000000CB68: BF800000
	v_cndmask_b32_e64 v143, v64, v143, s[40:41]                // 00000000CB6C: D100008F 00A31F40
	v_mov_b32_e32 v48, v128                                    // 00000000CB74: 7E600380
	v_max3_f32 v48, v128, v129, v48                            // 00000000CB78: D1D30030 04C30380
	v_max3_f32 v48, v130, v131, v48                            // 00000000CB80: D1D30030 04C30782
	v_max3_f32 v48, v132, v133, v48                            // 00000000CB88: D1D30030 04C30B84
	v_max3_f32 v48, v134, v135, v48                            // 00000000CB90: D1D30030 04C30F86
	v_max3_f32 v48, v136, v137, v48                            // 00000000CB98: D1D30030 04C31388
	v_max3_f32 v48, v138, v139, v48                            // 00000000CBA0: D1D30030 04C3178A
	v_max3_f32 v48, v140, v141, v48                            // 00000000CBA8: D1D30030 04C31B8C
	v_max3_f32 v48, v142, v143, v48                            // 00000000CBB0: D1D30030 04C31F8E
	ds_write_b32 v8, v48 offset:16896                          // 00000000CBB8: D81A4200 00003008
	v_mul_f32_e32 v216, v50, v216                              // 00000000CBC0: 0BB1B132
	v_mul_f32_e32 v217, v50, v217                              // 00000000CBC4: 0BB3B332
	v_mul_f32_e32 v218, v50, v218                              // 00000000CBC8: 0BB5B532
	v_mul_f32_e32 v219, v50, v219                              // 00000000CBCC: 0BB7B732
	v_mul_f32_e32 v220, v50, v220                              // 00000000CBD0: 0BB9B932
	v_mul_f32_e32 v221, v50, v221                              // 00000000CBD4: 0BBBBB32
	v_mul_f32_e32 v222, v50, v222                              // 00000000CBD8: 0BBDBD32
	v_mul_f32_e32 v223, v50, v223                              // 00000000CBDC: 0BBFBF32
	s_waitcnt lgkmcnt(0)                                       // 00000000CBE0: BF8CC07F
	s_barrier                                                  // 00000000CBE4: BF8A0000
	ds_read_b32 v64, v7 offset:16896                           // 00000000CBE8: D86C4200 40000007
	ds_read_b32 v65, v7 offset:16960                           // 00000000CBF0: D86C4240 41000007
	ds_read_b32 v66, v7 offset:17024                           // 00000000CBF8: D86C4280 42000007
	ds_read_b32 v67, v7 offset:17088                           // 00000000CC00: D86C42C0 43000007
	ds_read_b32 v68, v7 offset:17152                           // 00000000CC08: D86C4300 44000007
	ds_read_b32 v69, v7 offset:17216                           // 00000000CC10: D86C4340 45000007
	ds_read_b32 v70, v7 offset:17280                           // 00000000CC18: D86C4380 46000007
	ds_read_b32 v71, v7 offset:17344                           // 00000000CC20: D86C43C0 47000007
	ds_read_b32 v72, v7 offset:17408                           // 00000000CC28: D86C4400 48000007
	ds_read_b32 v73, v7 offset:17472                           // 00000000CC30: D86C4440 49000007
	ds_read_b32 v74, v7 offset:17536                           // 00000000CC38: D86C4480 4A000007
	ds_read_b32 v75, v7 offset:17600                           // 00000000CC40: D86C44C0 4B000007
	ds_read_b32 v76, v7 offset:17664                           // 00000000CC48: D86C4500 4C000007
	ds_read_b32 v77, v7 offset:17728                           // 00000000CC50: D86C4540 4D000007
	ds_read_b32 v78, v7 offset:17792                           // 00000000CC58: D86C4580 4E000007
	ds_read_b32 v79, v7 offset:17856                           // 00000000CC60: D86C45C0 4F000007
	v_cvt_f32_i32_e32 v184, v184                               // 00000000CC68: 7F700BB8
	v_cvt_f32_i32_e32 v185, v185                               // 00000000CC6C: 7F720BB9
	v_cvt_f32_i32_e32 v186, v186                               // 00000000CC70: 7F740BBA
	v_cvt_f32_i32_e32 v187, v187                               // 00000000CC74: 7F760BBB
	v_cvt_f32_i32_e32 v188, v188                               // 00000000CC78: 7F780BBC
	v_cvt_f32_i32_e32 v189, v189                               // 00000000CC7C: 7F7A0BBD
	v_cvt_f32_i32_e32 v190, v190                               // 00000000CC80: 7F7C0BBE
	v_cvt_f32_i32_e32 v191, v191                               // 00000000CC84: 7F7E0BBF
	v_mul_f32_e32 v184, v45, v184                              // 00000000CC88: 0B71712D
	v_mul_f32_e32 v185, v45, v185                              // 00000000CC8C: 0B73732D
	v_mul_f32_e32 v186, v45, v186                              // 00000000CC90: 0B75752D
	v_mul_f32_e32 v187, v45, v187                              // 00000000CC94: 0B77772D
	v_mul_f32_e32 v188, v45, v188                              // 00000000CC98: 0B79792D
	v_mul_f32_e32 v189, v45, v189                              // 00000000CC9C: 0B7B7B2D
	v_mul_f32_e32 v190, v45, v190                              // 00000000CCA0: 0B7D7D2D
	v_mul_f32_e32 v191, v45, v191                              // 00000000CCA4: 0B7F7F2D
	s_waitcnt lgkmcnt(0)                                       // 00000000CCA8: BF8CC07F
	v_max3_f32 v48, v64, v65, v48                              // 00000000CCAC: D1D30030 04C28340
	v_max3_f32 v48, v66, v67, v48                              // 00000000CCB4: D1D30030 04C28742
	v_max3_f32 v48, v68, v69, v48                              // 00000000CCBC: D1D30030 04C28B44
	v_max3_f32 v48, v70, v71, v48                              // 00000000CCC4: D1D30030 04C28F46
	v_max3_f32 v48, v72, v73, v48                              // 00000000CCCC: D1D30030 04C29348
	v_max3_f32 v48, v74, v75, v48                              // 00000000CCD4: D1D30030 04C2974A
	v_max3_f32 v48, v76, v77, v48                              // 00000000CCDC: D1D30030 04C29B4C
	v_max3_f32 v48, v78, v79, v48                              // 00000000CCE4: D1D30030 04C29F4E
	v_mov_b32_e32 v64, 0xff800000                              // 00000000CCEC: 7E8002FF FF800000
	v_cmp_eq_u32_e64 s[40:41], v64, v12                        // 00000000CCF4: D0CA0028 00021940
	s_nop 1                                                    // 00000000CCFC: BF800001
	v_max_f32_e32 v15, v48, v12                                // 00000000CD00: 161E1930
	v_mul_f32_e32 v53, s64, v15                                // 00000000CD04: 0A6A1E40
	v_fma_f32 v128, v128, s64, -v53                            // 00000000CD08: D1CB0080 84D48180
	v_fma_f32 v129, v129, s64, -v53                            // 00000000CD10: D1CB0081 84D48181
	v_fma_f32 v130, v130, s64, -v53                            // 00000000CD18: D1CB0082 84D48182
	v_fma_f32 v131, v131, s64, -v53                            // 00000000CD20: D1CB0083 84D48183
	v_fma_f32 v132, v132, s64, -v53                            // 00000000CD28: D1CB0084 84D48184
	v_fma_f32 v133, v133, s64, -v53                            // 00000000CD30: D1CB0085 84D48185
	v_fma_f32 v134, v134, s64, -v53                            // 00000000CD38: D1CB0086 84D48186
	v_fma_f32 v135, v135, s64, -v53                            // 00000000CD40: D1CB0087 84D48187
	v_fma_f32 v136, v136, s64, -v53                            // 00000000CD48: D1CB0088 84D48188
	v_fma_f32 v137, v137, s64, -v53                            // 00000000CD50: D1CB0089 84D48189
	v_fma_f32 v138, v138, s64, -v53                            // 00000000CD58: D1CB008A 84D4818A
	v_fma_f32 v139, v139, s64, -v53                            // 00000000CD60: D1CB008B 84D4818B
	v_fma_f32 v140, v140, s64, -v53                            // 00000000CD68: D1CB008C 84D4818C
	v_fma_f32 v141, v141, s64, -v53                            // 00000000CD70: D1CB008D 84D4818D
	v_fma_f32 v142, v142, s64, -v53                            // 00000000CD78: D1CB008E 84D4818E
	v_fma_f32 v143, v143, s64, -v53                            // 00000000CD80: D1CB008F 84D4818F
	v_exp_f32_e32 v128, v128                                   // 00000000CD88: 7F004180
	v_exp_f32_e32 v129, v129                                   // 00000000CD8C: 7F024181
	v_exp_f32_e32 v130, v130                                   // 00000000CD90: 7F044182
	v_exp_f32_e32 v131, v131                                   // 00000000CD94: 7F064183
	v_exp_f32_e32 v132, v132                                   // 00000000CD98: 7F084184
	v_exp_f32_e32 v133, v133                                   // 00000000CD9C: 7F0A4185
	v_exp_f32_e32 v134, v134                                   // 00000000CDA0: 7F0C4186
	v_exp_f32_e32 v135, v135                                   // 00000000CDA4: 7F0E4187
	v_exp_f32_e32 v136, v136                                   // 00000000CDA8: 7F104188
	v_exp_f32_e32 v137, v137                                   // 00000000CDAC: 7F124189
	v_exp_f32_e32 v138, v138                                   // 00000000CDB0: 7F14418A
	v_exp_f32_e32 v139, v139                                   // 00000000CDB4: 7F16418B
	v_exp_f32_e32 v140, v140                                   // 00000000CDB8: 7F18418C
	v_exp_f32_e32 v141, v141                                   // 00000000CDBC: 7F1A418D
	v_exp_f32_e32 v142, v142                                   // 00000000CDC0: 7F1C418E
	v_exp_f32_e32 v143, v143                                   // 00000000CDC4: 7F1E418F
	v_mul_f32_dpp v240, v252, v128 quad_perm:[0,0,0,0] row_mask:0xf bank_mask:0xf// 00000000CDC8: 0BE100FA FF0000FC
	v_mul_f32_dpp v241, v252, v129 quad_perm:[1,1,1,1] row_mask:0xf bank_mask:0xf// 00000000CDD0: 0BE302FA FF0055FC
	v_mul_f32_dpp v242, v252, v130 quad_perm:[2,2,2,2] row_mask:0xf bank_mask:0xf// 00000000CDD8: 0BE504FA FF00AAFC
	v_mul_f32_dpp v243, v252, v131 quad_perm:[3,3,3,3] row_mask:0xf bank_mask:0xf// 00000000CDE0: 0BE706FA FF00FFFC
	v_mul_f32_dpp v244, v253, v132 quad_perm:[0,0,0,0] row_mask:0xf bank_mask:0xf// 00000000CDE8: 0BE908FA FF0000FD
	v_mul_f32_dpp v245, v253, v133 quad_perm:[1,1,1,1] row_mask:0xf bank_mask:0xf// 00000000CDF0: 0BEB0AFA FF0055FD
	v_mul_f32_dpp v246, v253, v134 quad_perm:[2,2,2,2] row_mask:0xf bank_mask:0xf// 00000000CDF8: 0BED0CFA FF00AAFD
	v_mul_f32_dpp v247, v253, v135 quad_perm:[3,3,3,3] row_mask:0xf bank_mask:0xf// 00000000CE00: 0BEF0EFA FF00FFFD
	v_mul_f32_dpp v248, v254, v136 quad_perm:[0,0,0,0] row_mask:0xf bank_mask:0xf// 00000000CE08: 0BF110FA FF0000FE
	v_mul_f32_dpp v249, v254, v137 quad_perm:[1,1,1,1] row_mask:0xf bank_mask:0xf// 00000000CE10: 0BF312FA FF0055FE
	v_mul_f32_dpp v250, v254, v138 quad_perm:[2,2,2,2] row_mask:0xf bank_mask:0xf// 00000000CE18: 0BF514FA FF00AAFE
	v_mul_f32_dpp v251, v254, v139 quad_perm:[3,3,3,3] row_mask:0xf bank_mask:0xf// 00000000CE20: 0BF716FA FF00FFFE
	v_mul_f32_dpp v252, v255, v140 quad_perm:[0,0,0,0] row_mask:0xf bank_mask:0xf// 00000000CE28: 0BF918FA FF0000FF
	v_mul_f32_dpp v253, v255, v141 quad_perm:[1,1,1,1] row_mask:0xf bank_mask:0xf// 00000000CE30: 0BFB1AFA FF0055FF
	v_mul_f32_dpp v254, v255, v142 quad_perm:[2,2,2,2] row_mask:0xf bank_mask:0xf// 00000000CE38: 0BFD1CFA FF00AAFF
	v_mul_f32_dpp v255, v255, v143 quad_perm:[3,3,3,3] row_mask:0xf bank_mask:0xf// 00000000CE40: 0BFF1EFA FF00FFFF
	v_mov_b32_e32 v48, 0x358637bd                              // 00000000CE48: 7E6002FF 358637BD
	v_max3_f32 v48, |v240|, |v241|, v48                        // 00000000CE50: D1D30330 04C3E3F0
	v_max3_f32 v48, |v242|, |v243|, v48                        // 00000000CE58: D1D30330 04C3E7F2
	v_max3_f32 v48, |v244|, |v245|, v48                        // 00000000CE60: D1D30330 04C3EBF4
	v_max3_f32 v48, |v246|, |v247|, v48                        // 00000000CE68: D1D30330 04C3EFF6
	v_max3_f32 v48, |v248|, |v249|, v48                        // 00000000CE70: D1D30330 04C3F3F8
	v_max3_f32 v48, |v250|, |v251|, v48                        // 00000000CE78: D1D30330 04C3F7FA
	v_max3_f32 v48, |v252|, |v253|, v48                        // 00000000CE80: D1D30330 04C3FBFC
	v_max3_f32 v48, |v254|, |v255|, v48                        // 00000000CE88: D1D30330 04C3FFFE
	ds_write_b32 v8, v48 offset:20992                          // 00000000CE90: D81A5200 00003008
	v_sub_f32_e32 v50, v12, v15                                // 00000000CE98: 04641F0C
	v_cndmask_b32_e64 v50, v50, 0, s[40:41]                    // 00000000CE9C: D1000032 00A10132
	v_mov_b32_e32 v12, v15                                     // 00000000CEA4: 7E18030F
	v_mul_f32_e32 v50, s64, v50                                // 00000000CEA8: 0A646440
	v_exp_f32_e32 v50, v50                                     // 00000000CEAC: 7E644132
	s_waitcnt lgkmcnt(0)                                       // 00000000CEB0: BF8CC07F
	s_barrier                                                  // 00000000CEB4: BF8A0000
	ds_read_b32 v64, v7 offset:20992                           // 00000000CEB8: D86C5200 40000007
	ds_read_b32 v65, v7 offset:21056                           // 00000000CEC0: D86C5240 41000007
	ds_read_b32 v66, v7 offset:21120                           // 00000000CEC8: D86C5280 42000007
	ds_read_b32 v67, v7 offset:21184                           // 00000000CED0: D86C52C0 43000007
	ds_read_b32 v68, v7 offset:21248                           // 00000000CED8: D86C5300 44000007
	ds_read_b32 v69, v7 offset:21312                           // 00000000CEE0: D86C5340 45000007
	ds_read_b32 v70, v7 offset:21376                           // 00000000CEE8: D86C5380 46000007
	ds_read_b32 v71, v7 offset:21440                           // 00000000CEF0: D86C53C0 47000007
	ds_read_b32 v72, v7 offset:21504                           // 00000000CEF8: D86C5400 48000007
	ds_read_b32 v73, v7 offset:21568                           // 00000000CF00: D86C5440 49000007
	ds_read_b32 v74, v7 offset:21632                           // 00000000CF08: D86C5480 4A000007
	ds_read_b32 v75, v7 offset:21696                           // 00000000CF10: D86C54C0 4B000007
	ds_read_b32 v76, v7 offset:21760                           // 00000000CF18: D86C5500 4C000007
	ds_read_b32 v77, v7 offset:21824                           // 00000000CF20: D86C5540 4D000007
	ds_read_b32 v78, v7 offset:21888                           // 00000000CF28: D86C5580 4E000007
	ds_read_b32 v79, v7 offset:21952                           // 00000000CF30: D86C55C0 4F000007
	v_mul_f32_e32 v39, v50, v39                                // 00000000CF38: 0A4E4F32
	v_mov_b32_e32 v15, v128                                    // 00000000CF3C: 7E1E0380
	v_add_f32_e32 v15, v129, v15                               // 00000000CF40: 021E1F81
	v_add_f32_e32 v15, v130, v15                               // 00000000CF44: 021E1F82
	v_add_f32_e32 v15, v131, v15                               // 00000000CF48: 021E1F83
	v_add_f32_e32 v15, v132, v15                               // 00000000CF4C: 021E1F84
	v_add_f32_e32 v15, v133, v15                               // 00000000CF50: 021E1F85
	v_add_f32_e32 v15, v134, v15                               // 00000000CF54: 021E1F86
	v_add_f32_e32 v15, v135, v15                               // 00000000CF58: 021E1F87
	v_add_f32_e32 v15, v136, v15                               // 00000000CF5C: 021E1F88
	v_add_f32_e32 v15, v137, v15                               // 00000000CF60: 021E1F89
	v_add_f32_e32 v15, v138, v15                               // 00000000CF64: 021E1F8A
	v_add_f32_e32 v15, v139, v15                               // 00000000CF68: 021E1F8B
	v_add_f32_e32 v15, v140, v15                               // 00000000CF6C: 021E1F8C
	v_add_f32_e32 v15, v141, v15                               // 00000000CF70: 021E1F8D
	v_add_f32_e32 v15, v142, v15                               // 00000000CF74: 021E1F8E
	v_add_f32_e32 v15, v143, v15                               // 00000000CF78: 021E1F8F
	v_add_f32_e32 v39, v15, v39                                // 00000000CF7C: 024E4F0F
	s_waitcnt lgkmcnt(0)                                       // 00000000CF80: BF8CC07F
	v_max3_f32 v48, |v64|, |v65|, v48                          // 00000000CF84: D1D30330 04C28340
	v_max3_f32 v48, |v66|, |v67|, v48                          // 00000000CF8C: D1D30330 04C28742
	v_max3_f32 v48, |v68|, |v69|, v48                          // 00000000CF94: D1D30330 04C28B44
	v_max3_f32 v48, |v70|, |v71|, v48                          // 00000000CF9C: D1D30330 04C28F46
	v_max3_f32 v48, |v72|, |v73|, v48                          // 00000000CFA4: D1D30330 04C29348
	v_max3_f32 v48, |v74|, |v75|, v48                          // 00000000CFAC: D1D30330 04C2974A
	v_max3_f32 v48, |v76|, |v77|, v48                          // 00000000CFB4: D1D30330 04C29B4C
	v_max3_f32 v48, |v78|, |v79|, v48                          // 00000000CFBC: D1D30330 04C29F4E
	s_nop 2                                                    // 00000000CFC4: BF800002
	v_rcp_f32_e32 v48, v48                                     // 00000000CFC8: 7E604530
	s_nop 1                                                    // 00000000CFCC: BF800001
	v_mul_f32_e32 v48, 0x42fe0000, v48                         // 00000000CFD0: 0A6060FF 42FE0000
	v_mul_f32_e32 v128, v48, v240                              // 00000000CFD8: 0B01E130
	v_mul_f32_e32 v129, v48, v241                              // 00000000CFDC: 0B03E330
	v_mul_f32_e32 v130, v48, v242                              // 00000000CFE0: 0B05E530
	v_mul_f32_e32 v131, v48, v243                              // 00000000CFE4: 0B07E730
	v_mul_f32_e32 v132, v48, v244                              // 00000000CFE8: 0B09E930
	v_mul_f32_e32 v133, v48, v245                              // 00000000CFEC: 0B0BEB30
	v_mul_f32_e32 v134, v48, v246                              // 00000000CFF0: 0B0DED30
	v_mul_f32_e32 v135, v48, v247                              // 00000000CFF4: 0B0FEF30
	v_mul_f32_e32 v136, v48, v248                              // 00000000CFF8: 0B11F130
	v_mul_f32_e32 v137, v48, v249                              // 00000000CFFC: 0B13F330
	v_mul_f32_e32 v138, v48, v250                              // 00000000D000: 0B15F530
	v_mul_f32_e32 v139, v48, v251                              // 00000000D004: 0B17F730
	v_mul_f32_e32 v140, v48, v252                              // 00000000D008: 0B19F930
	v_mul_f32_e32 v141, v48, v253                              // 00000000D00C: 0B1BFB30
	v_mul_f32_e32 v142, v48, v254                              // 00000000D010: 0B1DFD30
	v_mul_f32_e32 v143, v48, v255                              // 00000000D014: 0B1FFF30
	v_cvt_i32_f32_e32 v128, v128                               // 00000000D018: 7F001180
	v_cvt_i32_f32_e32 v129, v129                               // 00000000D01C: 7F021181
	v_cvt_i32_f32_e32 v130, v130                               // 00000000D020: 7F041182
	v_cvt_i32_f32_e32 v131, v131                               // 00000000D024: 7F061183
	v_cvt_i32_f32_e32 v132, v132                               // 00000000D028: 7F081184
	v_cvt_i32_f32_e32 v133, v133                               // 00000000D02C: 7F0A1185
	v_cvt_i32_f32_e32 v134, v134                               // 00000000D030: 7F0C1186
	v_cvt_i32_f32_e32 v135, v135                               // 00000000D034: 7F0E1187
	v_cvt_i32_f32_e32 v136, v136                               // 00000000D038: 7F101188
	v_cvt_i32_f32_e32 v137, v137                               // 00000000D03C: 7F121189
	v_cvt_i32_f32_e32 v138, v138                               // 00000000D040: 7F14118A
	v_cvt_i32_f32_e32 v139, v139                               // 00000000D044: 7F16118B
	v_cvt_i32_f32_e32 v140, v140                               // 00000000D048: 7F18118C
	v_cvt_i32_f32_e32 v141, v141                               // 00000000D04C: 7F1A118D
	v_cvt_i32_f32_e32 v142, v142                               // 00000000D050: 7F1C118E
	v_cvt_i32_f32_e32 v143, v143                               // 00000000D054: 7F1E118F
	v_perm_b32 v128, v129, v128, s53                           // 00000000D058: D1ED0080 00D70181
	v_perm_b32 v128, v130, v128, s54                           // 00000000D060: D1ED0080 00DB0182
	v_perm_b32 v128, v131, v128, s55                           // 00000000D068: D1ED0080 00DF0183
	v_perm_b32 v129, v133, v132, s53                           // 00000000D070: D1ED0081 00D70985
	v_perm_b32 v129, v134, v129, s54                           // 00000000D078: D1ED0081 00DB0386
	v_perm_b32 v129, v135, v129, s55                           // 00000000D080: D1ED0081 00DF0387
	v_perm_b32 v130, v137, v136, s53                           // 00000000D088: D1ED0082 00D71189
	v_perm_b32 v130, v138, v130, s54                           // 00000000D090: D1ED0082 00DB058A
	v_perm_b32 v130, v139, v130, s55                           // 00000000D098: D1ED0082 00DF058B
	v_perm_b32 v131, v141, v140, s53                           // 00000000D0A0: D1ED0083 00D7198D
	v_perm_b32 v131, v142, v131, s54                           // 00000000D0A8: D1ED0083 00DB078E
	v_perm_b32 v131, v143, v131, s55                           // 00000000D0B0: D1ED0083 00DF078F
	ds_write_b32 v10, v128 offset:29184                        // 00000000D0B8: D81A7200 0000800A
	ds_write_b32 v10, v129 offset:30208                        // 00000000D0C0: D81A7600 0000810A
	ds_write_b32 v10, v130 offset:31232                        // 00000000D0C8: D81A7A00 0000820A
	ds_write_b32 v10, v131 offset:32256                        // 00000000D0D0: D81A7E00 0000830A
	v_add_f32_e32 v216, v216, v184                             // 00000000D0D8: 03B171D8
	v_add_f32_e32 v217, v217, v185                             // 00000000D0DC: 03B373D9
	v_add_f32_e32 v218, v218, v186                             // 00000000D0E0: 03B575DA
	v_add_f32_e32 v219, v219, v187                             // 00000000D0E4: 03B777DB
	v_add_f32_e32 v220, v220, v188                             // 00000000D0E8: 03B979DC
	v_add_f32_e32 v221, v221, v189                             // 00000000D0EC: 03BB7BDD
	v_add_f32_e32 v222, v222, v190                             // 00000000D0F0: 03BD7DDE
	v_add_f32_e32 v223, v223, v191                             // 00000000D0F4: 03BF7FDF
	v_rcp_f32_e32 v45, v48                                     // 00000000D0F8: 7E5A4530
	s_waitcnt lgkmcnt(0)                                       // 00000000D0FC: BF8CC07F
	s_barrier                                                  // 00000000D100: BF8A0000
	ds_read_b64 v[128:129], v9 offset:29184                    // 00000000D104: D8EC7200 80000009
	ds_read_b64 v[130:131], v9 offset:29312                    // 00000000D10C: D8EC7280 82000009
	ds_read_b64 v[132:133], v9 offset:30208                    // 00000000D114: D8EC7600 84000009
	ds_read_b64 v[134:135], v9 offset:30336                    // 00000000D11C: D8EC7680 86000009
	ds_read_b64 v[136:137], v9 offset:31232                    // 00000000D124: D8EC7A00 88000009
	ds_read_b64 v[138:139], v9 offset:31360                    // 00000000D12C: D8EC7A80 8A000009
	ds_read_b64 v[140:141], v9 offset:32256                    // 00000000D134: D8EC7E00 8C000009
	ds_read_b64 v[142:143], v9 offset:32384                    // 00000000D13C: D8EC7E80 8E000009
	s_waitcnt vmcnt(0)                                         // 00000000D144: BF8C0F70
	s_barrier                                                  // 00000000D148: BF8A0000
	v_mfma_i32_16x16x32_i8 v[176:179], a[64:65], v[112:113], 0 // 00000000D14C: D3D700B0 0A02E140
	v_mfma_i32_16x16x32_i8 v[176:179], a[66:67], v[114:115], v[176:179]// 00000000D154: D3D700B0 0EC2E542
	v_mfma_i32_16x16x32_i8 v[176:179], a[68:69], v[116:117], v[176:179]// 00000000D15C: D3D700B0 0EC2E944
	v_mfma_i32_16x16x32_i8 v[176:179], a[70:71], v[118:119], v[176:179]// 00000000D164: D3D700B0 0EC2ED46
	v_mfma_i32_16x16x32_i8 v[176:179], a[72:73], v[120:121], v[176:179]// 00000000D16C: D3D700B0 0EC2F148
	v_mfma_i32_16x16x32_i8 v[176:179], a[74:75], v[122:123], v[176:179]// 00000000D174: D3D700B0 0EC2F54A
	v_mfma_i32_16x16x32_i8 v[176:179], a[76:77], v[124:125], v[176:179]// 00000000D17C: D3D700B0 0EC2F94C
	v_mfma_i32_16x16x32_i8 v[176:179], a[78:79], v[126:127], v[176:179]// 00000000D184: D3D700B0 0EC2FD4E
	v_mfma_i32_16x16x32_i8 v[180:183], a[80:81], v[112:113], 0 // 00000000D18C: D3D700B4 0A02E150
	v_mfma_i32_16x16x32_i8 v[180:183], a[82:83], v[114:115], v[180:183]// 00000000D194: D3D700B4 0ED2E552
	v_mfma_i32_16x16x32_i8 v[180:183], a[84:85], v[116:117], v[180:183]// 00000000D19C: D3D700B4 0ED2E954
	v_mfma_i32_16x16x32_i8 v[180:183], a[86:87], v[118:119], v[180:183]// 00000000D1A4: D3D700B4 0ED2ED56
	v_mfma_i32_16x16x32_i8 v[180:183], a[88:89], v[120:121], v[180:183]// 00000000D1AC: D3D700B4 0ED2F158
	v_mfma_i32_16x16x32_i8 v[180:183], a[90:91], v[122:123], v[180:183]// 00000000D1B4: D3D700B4 0ED2F55A
	v_mfma_i32_16x16x32_i8 v[180:183], a[92:93], v[124:125], v[180:183]// 00000000D1BC: D3D700B4 0ED2F95C
	v_mfma_i32_16x16x32_i8 v[180:183], a[94:95], v[126:127], v[180:183]// 00000000D1C4: D3D700B4 0ED2FD5E
	v_mfma_i32_16x16x32_i8 v[184:187], a[64:65], v[128:129], 0 // 00000000D1CC: D3D700B8 0A030140
	v_mfma_i32_16x16x32_i8 v[184:187], a[66:67], v[130:131], v[184:187]// 00000000D1D4: D3D700B8 0EE30542
	v_mfma_i32_16x16x32_i8 v[184:187], a[68:69], v[132:133], v[184:187]// 00000000D1DC: D3D700B8 0EE30944
	v_mfma_i32_16x16x32_i8 v[184:187], a[70:71], v[134:135], v[184:187]// 00000000D1E4: D3D700B8 0EE30D46
	v_mfma_i32_16x16x32_i8 v[184:187], a[72:73], v[136:137], v[184:187]// 00000000D1EC: D3D700B8 0EE31148
	v_mfma_i32_16x16x32_i8 v[184:187], a[74:75], v[138:139], v[184:187]// 00000000D1F4: D3D700B8 0EE3154A
	v_mfma_i32_16x16x32_i8 v[184:187], a[76:77], v[140:141], v[184:187]// 00000000D1FC: D3D700B8 0EE3194C
	v_mfma_i32_16x16x32_i8 v[184:187], a[78:79], v[142:143], v[184:187]// 00000000D204: D3D700B8 0EE31D4E
	v_mfma_i32_16x16x32_i8 v[188:191], a[80:81], v[128:129], 0 // 00000000D20C: D3D700BC 0A030150
	v_mfma_i32_16x16x32_i8 v[188:191], a[82:83], v[130:131], v[188:191]// 00000000D214: D3D700BC 0EF30552
	v_mfma_i32_16x16x32_i8 v[188:191], a[84:85], v[132:133], v[188:191]// 00000000D21C: D3D700BC 0EF30954
	v_mfma_i32_16x16x32_i8 v[188:191], a[86:87], v[134:135], v[188:191]// 00000000D224: D3D700BC 0EF30D56
	v_mfma_i32_16x16x32_i8 v[188:191], a[88:89], v[136:137], v[188:191]// 00000000D22C: D3D700BC 0EF31158
	v_mfma_i32_16x16x32_i8 v[188:191], a[90:91], v[138:139], v[188:191]// 00000000D234: D3D700BC 0EF3155A
	v_mfma_i32_16x16x32_i8 v[188:191], a[92:93], v[140:141], v[188:191]// 00000000D23C: D3D700BC 0EF3195C
	v_mfma_i32_16x16x32_i8 v[188:191], a[94:95], v[142:143], v[188:191]// 00000000D244: D3D700BC 0EF31D5E
	s_nop 4                                                    // 00000000D24C: BF800004
	s_branch label_314F                                        // 00000000D250: BF82053A

000000000000d254 <label_2C15>:
	s_waitcnt vmcnt(8) lgkmcnt(0)                              // 00000000D254: BF8C0078
	s_barrier                                                  // 00000000D258: BF8A0000
	v_mfma_i32_16x16x32_i8 v[112:115], a[32:33], v[80:81], 0   // 00000000D25C: D3D70070 0A02A120
	v_mfma_i32_16x16x32_i8 v[112:115], a[34:35], v[82:83], v[112:115]// 00000000D264: D3D70070 0DC2A522
	v_mfma_i32_16x16x32_i8 v[112:115], a[36:37], v[84:85], v[112:115]// 00000000D26C: D3D70070 0DC2A924
	v_mfma_i32_16x16x32_i8 v[112:115], a[38:39], v[86:87], v[112:115]// 00000000D274: D3D70070 0DC2AD26
	v_mfma_i32_16x16x32_i8 v[116:119], a[40:41], v[80:81], 0   // 00000000D27C: D3D70074 0A02A128
	v_mfma_i32_16x16x32_i8 v[116:119], a[42:43], v[82:83], v[116:119]// 00000000D284: D3D70074 0DD2A52A
	v_mfma_i32_16x16x32_i8 v[116:119], a[44:45], v[84:85], v[116:119]// 00000000D28C: D3D70074 0DD2A92C
	v_mfma_i32_16x16x32_i8 v[116:119], a[46:47], v[86:87], v[116:119]// 00000000D294: D3D70074 0DD2AD2E
	v_mfma_i32_16x16x32_i8 v[120:123], a[48:49], v[80:81], 0   // 00000000D29C: D3D70078 0A02A130
	v_mfma_i32_16x16x32_i8 v[120:123], a[50:51], v[82:83], v[120:123]// 00000000D2A4: D3D70078 0DE2A532
	v_mfma_i32_16x16x32_i8 v[120:123], a[52:53], v[84:85], v[120:123]// 00000000D2AC: D3D70078 0DE2A934
	v_mfma_i32_16x16x32_i8 v[120:123], a[54:55], v[86:87], v[120:123]// 00000000D2B4: D3D70078 0DE2AD36
	v_mfma_i32_16x16x32_i8 v[124:127], a[56:57], v[80:81], 0   // 00000000D2BC: D3D7007C 0A02A138
	v_mfma_i32_16x16x32_i8 v[124:127], a[58:59], v[82:83], v[124:127]// 00000000D2C4: D3D7007C 0DF2A53A
	v_mfma_i32_16x16x32_i8 v[124:127], a[60:61], v[84:85], v[124:127]// 00000000D2CC: D3D7007C 0DF2A93C
	v_mfma_i32_16x16x32_i8 v[124:127], a[62:63], v[86:87], v[124:127]// 00000000D2D4: D3D7007C 0DF2AD3E
	v_mfma_i32_16x16x32_i8 v[128:131], a[32:33], v[88:89], 0   // 00000000D2DC: D3D70080 0A02B120
	v_mfma_i32_16x16x32_i8 v[128:131], a[34:35], v[90:91], v[128:131]// 00000000D2E4: D3D70080 0E02B522
	v_mfma_i32_16x16x32_i8 v[128:131], a[36:37], v[92:93], v[128:131]// 00000000D2EC: D3D70080 0E02B924
	v_mfma_i32_16x16x32_i8 v[128:131], a[38:39], v[94:95], v[128:131]// 00000000D2F4: D3D70080 0E02BD26
	v_mfma_i32_16x16x32_i8 v[132:135], a[40:41], v[88:89], 0   // 00000000D2FC: D3D70084 0A02B128
	v_mfma_i32_16x16x32_i8 v[132:135], a[42:43], v[90:91], v[132:135]// 00000000D304: D3D70084 0E12B52A
	v_mfma_i32_16x16x32_i8 v[132:135], a[44:45], v[92:93], v[132:135]// 00000000D30C: D3D70084 0E12B92C
	v_mfma_i32_16x16x32_i8 v[132:135], a[46:47], v[94:95], v[132:135]// 00000000D314: D3D70084 0E12BD2E
	v_mfma_i32_16x16x32_i8 v[136:139], a[48:49], v[88:89], 0   // 00000000D31C: D3D70088 0A02B130
	v_mfma_i32_16x16x32_i8 v[136:139], a[50:51], v[90:91], v[136:139]// 00000000D324: D3D70088 0E22B532
	v_mfma_i32_16x16x32_i8 v[136:139], a[52:53], v[92:93], v[136:139]// 00000000D32C: D3D70088 0E22B934
	v_mfma_i32_16x16x32_i8 v[136:139], a[54:55], v[94:95], v[136:139]// 00000000D334: D3D70088 0E22BD36
	v_mfma_i32_16x16x32_i8 v[140:143], a[56:57], v[88:89], 0   // 00000000D33C: D3D7008C 0A02B138
	v_mfma_i32_16x16x32_i8 v[140:143], a[58:59], v[90:91], v[140:143]// 00000000D344: D3D7008C 0E32B53A
	v_mfma_i32_16x16x32_i8 v[140:143], a[60:61], v[92:93], v[140:143]// 00000000D34C: D3D7008C 0E32B93C
	v_mfma_i32_16x16x32_i8 v[140:143], a[62:63], v[94:95], v[140:143]// 00000000D354: D3D7008C 0E32BD3E
	v_mov_b32_dpp v64, v43 row_shr:4 row_mask:0xf bank_mask:0xf// 00000000D35C: 7E8002FA FF01142B
	v_mov_b32_dpp v65, v43 row_shl:4 row_mask:0xf bank_mask:0xf// 00000000D364: 7E8202FA FF01042B
	v_cndmask_b32_e64 v248, v43, v64, s[44:45]                 // 00000000D36C: D10000F8 00B2812B
	v_cndmask_b32_e64 v249, v65, v43, s[44:45]                 // 00000000D374: D10000F9 00B25741
	v_mov_b32_dpp v64, v248 row_shr:8 row_mask:0xf bank_mask:0xf// 00000000D37C: 7E8002FA FF0118F8
	v_mov_b32_dpp v65, v248 row_shl:8 row_mask:0xf bank_mask:0xf// 00000000D384: 7E8202FA FF0108F8
	v_mov_b32_dpp v66, v249 row_shr:8 row_mask:0xf bank_mask:0xf// 00000000D38C: 7E8402FA FF0118F9
	v_mov_b32_dpp v67, v249 row_shl:8 row_mask:0xf bank_mask:0xf// 00000000D394: 7E8602FA FF0108F9
	v_mov_b32_e32 v68, v248                                    // 00000000D39C: 7E8803F8
	v_mov_b32_e32 v69, v249                                    // 00000000D3A0: 7E8A03F9
	v_cndmask_b32_e64 v248, v68, v64, s[42:43]                 // 00000000D3A4: D10000F8 00AA8144
	v_cndmask_b32_e64 v250, v68, v65, s[78:79]                 // 00000000D3AC: D10000FA 013A8344
	v_cndmask_b32_e64 v249, v69, v66, s[42:43]                 // 00000000D3B4: D10000F9 00AA8545
	v_cndmask_b32_e64 v251, v69, v67, s[78:79]                 // 00000000D3BC: D10000FB 013A8745
	v_mov_b32_dpp v64, v58 row_shr:4 row_mask:0xf bank_mask:0xf// 00000000D3C4: 7E8002FA FF01143A
	v_mov_b32_dpp v65, v58 row_shl:4 row_mask:0xf bank_mask:0xf// 00000000D3CC: 7E8202FA FF01043A
	v_cndmask_b32_e64 v252, v58, v64, s[44:45]                 // 00000000D3D4: D10000FC 00B2813A
	v_cndmask_b32_e64 v253, v65, v58, s[44:45]                 // 00000000D3DC: D10000FD 00B27541
	v_mov_b32_dpp v64, v252 row_shr:8 row_mask:0xf bank_mask:0xf// 00000000D3E4: 7E8002FA FF0118FC
	v_mov_b32_dpp v65, v252 row_shl:8 row_mask:0xf bank_mask:0xf// 00000000D3EC: 7E8202FA FF0108FC
	v_mov_b32_dpp v66, v253 row_shr:8 row_mask:0xf bank_mask:0xf// 00000000D3F4: 7E8402FA FF0118FD
	v_mov_b32_dpp v67, v253 row_shl:8 row_mask:0xf bank_mask:0xf// 00000000D3FC: 7E8602FA FF0108FD
	v_mov_b32_e32 v68, v252                                    // 00000000D404: 7E8803FC
	v_mov_b32_e32 v69, v253                                    // 00000000D408: 7E8A03FD
	v_cndmask_b32_e64 v252, v68, v64, s[42:43]                 // 00000000D40C: D10000FC 00AA8144
	v_cndmask_b32_e64 v254, v68, v65, s[78:79]                 // 00000000D414: D10000FE 013A8344
	v_cndmask_b32_e64 v253, v69, v66, s[42:43]                 // 00000000D41C: D10000FD 00AA8545
	v_cndmask_b32_e64 v255, v69, v67, s[78:79]                 // 00000000D424: D10000FF 013A8745
	v_cvt_f32_i32_e32 v112, v112                               // 00000000D42C: 7EE00B70
	v_cvt_f32_i32_e32 v113, v113                               // 00000000D430: 7EE20B71
	v_cvt_f32_i32_e32 v114, v114                               // 00000000D434: 7EE40B72
	v_cvt_f32_i32_e32 v115, v115                               // 00000000D438: 7EE60B73
	v_cvt_f32_i32_e32 v116, v116                               // 00000000D43C: 7EE80B74
	v_cvt_f32_i32_e32 v117, v117                               // 00000000D440: 7EEA0B75
	v_cvt_f32_i32_e32 v118, v118                               // 00000000D444: 7EEC0B76
	v_cvt_f32_i32_e32 v119, v119                               // 00000000D448: 7EEE0B77
	v_cvt_f32_i32_e32 v120, v120                               // 00000000D44C: 7EF00B78
	v_cvt_f32_i32_e32 v121, v121                               // 00000000D450: 7EF20B79
	v_cvt_f32_i32_e32 v122, v122                               // 00000000D454: 7EF40B7A
	v_cvt_f32_i32_e32 v123, v123                               // 00000000D458: 7EF60B7B
	v_cvt_f32_i32_e32 v124, v124                               // 00000000D45C: 7EF80B7C
	v_cvt_f32_i32_e32 v125, v125                               // 00000000D460: 7EFA0B7D
	v_cvt_f32_i32_e32 v126, v126                               // 00000000D464: 7EFC0B7E
	v_cvt_f32_i32_e32 v127, v127                               // 00000000D468: 7EFE0B7F
	v_mul_f32_e32 v112, v18, v112                              // 00000000D46C: 0AE0E112
	v_mul_f32_e32 v113, v18, v113                              // 00000000D470: 0AE2E312
	v_mul_f32_e32 v114, v18, v114                              // 00000000D474: 0AE4E512
	v_mul_f32_e32 v115, v18, v115                              // 00000000D478: 0AE6E712
	v_mul_f32_e32 v116, v18, v116                              // 00000000D47C: 0AE8E912
	v_mul_f32_e32 v117, v18, v117                              // 00000000D480: 0AEAEB12
	v_mul_f32_e32 v118, v18, v118                              // 00000000D484: 0AECED12
	v_mul_f32_e32 v119, v18, v119                              // 00000000D488: 0AEEEF12
	v_mul_f32_e32 v120, v18, v120                              // 00000000D48C: 0AF0F112
	v_mul_f32_e32 v121, v18, v121                              // 00000000D490: 0AF2F312
	v_mul_f32_e32 v122, v18, v122                              // 00000000D494: 0AF4F512
	v_mul_f32_e32 v123, v18, v123                              // 00000000D498: 0AF6F712
	v_mul_f32_e32 v124, v18, v124                              // 00000000D49C: 0AF8F912
	v_mul_f32_e32 v125, v18, v125                              // 00000000D4A0: 0AFAFB12
	v_mul_f32_e32 v126, v18, v126                              // 00000000D4A4: 0AFCFD12
	v_mul_f32_e32 v127, v18, v127                              // 00000000D4A8: 0AFEFF12
	v_mul_f32_dpp v112, v248, v112 quad_perm:[0,0,0,0] row_mask:0xf bank_mask:0xf// 00000000D4AC: 0AE0E0FA FF0000F8
	v_mul_f32_dpp v113, v248, v113 quad_perm:[1,1,1,1] row_mask:0xf bank_mask:0xf// 00000000D4B4: 0AE2E2FA FF0055F8
	v_mul_f32_dpp v114, v248, v114 quad_perm:[2,2,2,2] row_mask:0xf bank_mask:0xf// 00000000D4BC: 0AE4E4FA FF00AAF8
	v_mul_f32_dpp v115, v248, v115 quad_perm:[3,3,3,3] row_mask:0xf bank_mask:0xf// 00000000D4C4: 0AE6E6FA FF00FFF8
	v_mul_f32_dpp v116, v249, v116 quad_perm:[0,0,0,0] row_mask:0xf bank_mask:0xf// 00000000D4CC: 0AE8E8FA FF0000F9
	v_mul_f32_dpp v117, v249, v117 quad_perm:[1,1,1,1] row_mask:0xf bank_mask:0xf// 00000000D4D4: 0AEAEAFA FF0055F9
	v_mul_f32_dpp v118, v249, v118 quad_perm:[2,2,2,2] row_mask:0xf bank_mask:0xf// 00000000D4DC: 0AECECFA FF00AAF9
	v_mul_f32_dpp v119, v249, v119 quad_perm:[3,3,3,3] row_mask:0xf bank_mask:0xf// 00000000D4E4: 0AEEEEFA FF00FFF9
	v_mul_f32_dpp v120, v250, v120 quad_perm:[0,0,0,0] row_mask:0xf bank_mask:0xf// 00000000D4EC: 0AF0F0FA FF0000FA
	v_mul_f32_dpp v121, v250, v121 quad_perm:[1,1,1,1] row_mask:0xf bank_mask:0xf// 00000000D4F4: 0AF2F2FA FF0055FA
	v_mul_f32_dpp v122, v250, v122 quad_perm:[2,2,2,2] row_mask:0xf bank_mask:0xf// 00000000D4FC: 0AF4F4FA FF00AAFA
	v_mul_f32_dpp v123, v250, v123 quad_perm:[3,3,3,3] row_mask:0xf bank_mask:0xf// 00000000D504: 0AF6F6FA FF00FFFA
	v_mul_f32_dpp v124, v251, v124 quad_perm:[0,0,0,0] row_mask:0xf bank_mask:0xf// 00000000D50C: 0AF8F8FA FF0000FB
	v_mul_f32_dpp v125, v251, v125 quad_perm:[1,1,1,1] row_mask:0xf bank_mask:0xf// 00000000D514: 0AFAFAFA FF0055FB
	v_mul_f32_dpp v126, v251, v126 quad_perm:[2,2,2,2] row_mask:0xf bank_mask:0xf// 00000000D51C: 0AFCFCFA FF00AAFB
	v_mul_f32_dpp v127, v251, v127 quad_perm:[3,3,3,3] row_mask:0xf bank_mask:0xf// 00000000D524: 0AFEFEFA FF00FFFB
	s_and_b32 s60, s72, 0xff                                   // 00000000D52C: 863CFF48 000000FF
	v_mov_b32_e32 v65, s60                                     // 00000000D534: 7E82023C
	v_lshrrev_b32_e32 v240, 4, v0                              // 00000000D538: 21E00084
	v_mul_i32_i24_e32 v240, 4, v240                            // 00000000D53C: 0DE1E084
	s_mul_i32 s60, s7, 16                                      // 00000000D540: 923C9007
	v_add_u32_e32 v240, s60, v240                              // 00000000D544: 69E1E03C
	v_add_u32_e32 v241, 1, v240                                // 00000000D548: 69E3E081
	v_add_u32_e32 v242, 2, v240                                // 00000000D54C: 69E5E082
	v_add_u32_e32 v243, 3, v240                                // 00000000D550: 69E7E083
	v_mov_b32_e32 v64, 0xff800000                              // 00000000D554: 7E8002FF FF800000
	v_cmp_lt_u32_e64 s[40:41], v240, v65                       // 00000000D55C: D0C90028 000283F0
	v_add_u32_e32 v240, 64, v240                               // 00000000D564: 69E1E0C0
	s_nop 0                                                    // 00000000D568: BF800000
	v_cndmask_b32_e64 v112, v64, v112, s[40:41]                // 00000000D56C: D1000070 00A2E140
	v_cmp_lt_u32_e64 s[40:41], v241, v65                       // 00000000D574: D0C90028 000283F1
	v_add_u32_e32 v241, 64, v241                               // 00000000D57C: 69E3E2C0
	s_nop 0                                                    // 00000000D580: BF800000
	v_cndmask_b32_e64 v113, v64, v113, s[40:41]                // 00000000D584: D1000071 00A2E340
	v_cmp_lt_u32_e64 s[40:41], v242, v65                       // 00000000D58C: D0C90028 000283F2
	v_add_u32_e32 v242, 64, v242                               // 00000000D594: 69E5E4C0
	s_nop 0                                                    // 00000000D598: BF800000
	v_cndmask_b32_e64 v114, v64, v114, s[40:41]                // 00000000D59C: D1000072 00A2E540
	v_cmp_lt_u32_e64 s[40:41], v243, v65                       // 00000000D5A4: D0C90028 000283F3
	v_add_u32_e32 v243, 64, v243                               // 00000000D5AC: 69E7E6C0
	s_nop 0                                                    // 00000000D5B0: BF800000
	v_cndmask_b32_e64 v115, v64, v115, s[40:41]                // 00000000D5B4: D1000073 00A2E740
	v_cmp_lt_u32_e64 s[40:41], v240, v65                       // 00000000D5BC: D0C90028 000283F0
	v_add_u32_e32 v240, 64, v240                               // 00000000D5C4: 69E1E0C0
	s_nop 0                                                    // 00000000D5C8: BF800000
	v_cndmask_b32_e64 v116, v64, v116, s[40:41]                // 00000000D5CC: D1000074 00A2E940
	v_cmp_lt_u32_e64 s[40:41], v241, v65                       // 00000000D5D4: D0C90028 000283F1
	v_add_u32_e32 v241, 64, v241                               // 00000000D5DC: 69E3E2C0
	s_nop 0                                                    // 00000000D5E0: BF800000
	v_cndmask_b32_e64 v117, v64, v117, s[40:41]                // 00000000D5E4: D1000075 00A2EB40
	v_cmp_lt_u32_e64 s[40:41], v242, v65                       // 00000000D5EC: D0C90028 000283F2
	v_add_u32_e32 v242, 64, v242                               // 00000000D5F4: 69E5E4C0
	s_nop 0                                                    // 00000000D5F8: BF800000
	v_cndmask_b32_e64 v118, v64, v118, s[40:41]                // 00000000D5FC: D1000076 00A2ED40
	v_cmp_lt_u32_e64 s[40:41], v243, v65                       // 00000000D604: D0C90028 000283F3
	v_add_u32_e32 v243, 64, v243                               // 00000000D60C: 69E7E6C0
	s_nop 0                                                    // 00000000D610: BF800000
	v_cndmask_b32_e64 v119, v64, v119, s[40:41]                // 00000000D614: D1000077 00A2EF40
	v_cmp_lt_u32_e64 s[40:41], v240, v65                       // 00000000D61C: D0C90028 000283F0
	v_add_u32_e32 v240, 64, v240                               // 00000000D624: 69E1E0C0
	s_nop 0                                                    // 00000000D628: BF800000
	v_cndmask_b32_e64 v120, v64, v120, s[40:41]                // 00000000D62C: D1000078 00A2F140
	v_cmp_lt_u32_e64 s[40:41], v241, v65                       // 00000000D634: D0C90028 000283F1
	v_add_u32_e32 v241, 64, v241                               // 00000000D63C: 69E3E2C0
	s_nop 0                                                    // 00000000D640: BF800000
	v_cndmask_b32_e64 v121, v64, v121, s[40:41]                // 00000000D644: D1000079 00A2F340
	v_cmp_lt_u32_e64 s[40:41], v242, v65                       // 00000000D64C: D0C90028 000283F2
	v_add_u32_e32 v242, 64, v242                               // 00000000D654: 69E5E4C0
	s_nop 0                                                    // 00000000D658: BF800000
	v_cndmask_b32_e64 v122, v64, v122, s[40:41]                // 00000000D65C: D100007A 00A2F540
	v_cmp_lt_u32_e64 s[40:41], v243, v65                       // 00000000D664: D0C90028 000283F3
	v_add_u32_e32 v243, 64, v243                               // 00000000D66C: 69E7E6C0
	s_nop 0                                                    // 00000000D670: BF800000
	v_cndmask_b32_e64 v123, v64, v123, s[40:41]                // 00000000D674: D100007B 00A2F740
	v_cmp_lt_u32_e64 s[40:41], v240, v65                       // 00000000D67C: D0C90028 000283F0
	v_add_u32_e32 v240, 64, v240                               // 00000000D684: 69E1E0C0
	s_nop 0                                                    // 00000000D688: BF800000
	v_cndmask_b32_e64 v124, v64, v124, s[40:41]                // 00000000D68C: D100007C 00A2F940
	v_cmp_lt_u32_e64 s[40:41], v241, v65                       // 00000000D694: D0C90028 000283F1
	v_add_u32_e32 v241, 64, v241                               // 00000000D69C: 69E3E2C0
	s_nop 0                                                    // 00000000D6A0: BF800000
	v_cndmask_b32_e64 v125, v64, v125, s[40:41]                // 00000000D6A4: D100007D 00A2FB40
	v_cmp_lt_u32_e64 s[40:41], v242, v65                       // 00000000D6AC: D0C90028 000283F2
	v_add_u32_e32 v242, 64, v242                               // 00000000D6B4: 69E5E4C0
	s_nop 0                                                    // 00000000D6B8: BF800000
	v_cndmask_b32_e64 v126, v64, v126, s[40:41]                // 00000000D6BC: D100007E 00A2FD40
	v_cmp_lt_u32_e64 s[40:41], v243, v65                       // 00000000D6C4: D0C90028 000283F3
	v_add_u32_e32 v243, 64, v243                               // 00000000D6CC: 69E7E6C0
	s_nop 0                                                    // 00000000D6D0: BF800000
	v_cndmask_b32_e64 v127, v64, v127, s[40:41]                // 00000000D6D4: D100007F 00A2FF40
	v_mov_b32_e32 v48, v112                                    // 00000000D6DC: 7E600370
	v_max3_f32 v48, v112, v113, v48                            // 00000000D6E0: D1D30030 04C2E370
	v_max3_f32 v48, v114, v115, v48                            // 00000000D6E8: D1D30030 04C2E772
	v_max3_f32 v48, v116, v117, v48                            // 00000000D6F0: D1D30030 04C2EB74
	v_max3_f32 v48, v118, v119, v48                            // 00000000D6F8: D1D30030 04C2EF76
	v_max3_f32 v48, v120, v121, v48                            // 00000000D700: D1D30030 04C2F378
	v_max3_f32 v48, v122, v123, v48                            // 00000000D708: D1D30030 04C2F77A
	v_max3_f32 v48, v124, v125, v48                            // 00000000D710: D1D30030 04C2FB7C
	v_max3_f32 v48, v126, v127, v48                            // 00000000D718: D1D30030 04C2FF7E
	ds_write_b32 v8, v48 offset:16896                          // 00000000D720: D81A4200 00003008
	v_mul_u32_u24_dpp v64, v16, v54 row_newbcast:1 row_mask:0xf bank_mask:0xf// 00000000D728: 10806CFA FF015110
	v_mul_u32_u24_dpp v65, v16, v54 row_newbcast:5 row_mask:0xf bank_mask:0xf// 00000000D730: 10826CFA FF015510
	v_mul_u32_u24_dpp v66, v16, v54 row_newbcast:9 row_mask:0xf bank_mask:0xf// 00000000D738: 10846CFA FF015910
	v_mul_u32_u24_dpp v67, v16, v54 row_newbcast:13 row_mask:0xf bank_mask:0xf// 00000000D740: 10866CFA FF015D10
	v_add_u32_e32 v30, v64, v6                                 // 00000000D748: 683C0D40
	v_add_u32_e32 v31, v65, v6                                 // 00000000D74C: 683E0D41
	v_add_u32_e32 v32, v66, v6                                 // 00000000D750: 68400D42
	v_add_u32_e32 v33, v67, v6                                 // 00000000D754: 68420D43
	v_mul_f32_e32 v208, v49, v208                              // 00000000D758: 0BA1A131
	v_mul_f32_e32 v209, v49, v209                              // 00000000D75C: 0BA3A331
	v_mul_f32_e32 v210, v49, v210                              // 00000000D760: 0BA5A531
	v_mul_f32_e32 v211, v49, v211                              // 00000000D764: 0BA7A731
	v_mul_f32_e32 v212, v49, v212                              // 00000000D768: 0BA9A931
	v_mul_f32_e32 v213, v49, v213                              // 00000000D76C: 0BABAB31
	v_mul_f32_e32 v214, v49, v214                              // 00000000D770: 0BADAD31
	v_mul_f32_e32 v215, v49, v215                              // 00000000D774: 0BAFAF31
	s_waitcnt lgkmcnt(0)                                       // 00000000D778: BF8CC07F
	s_barrier                                                  // 00000000D77C: BF8A0000
	ds_read_b32 v64, v7 offset:16896                           // 00000000D780: D86C4200 40000007
	ds_read_b32 v65, v7 offset:16960                           // 00000000D788: D86C4240 41000007
	ds_read_b32 v66, v7 offset:17024                           // 00000000D790: D86C4280 42000007
	ds_read_b32 v67, v7 offset:17088                           // 00000000D798: D86C42C0 43000007
	ds_read_b32 v68, v7 offset:17152                           // 00000000D7A0: D86C4300 44000007
	ds_read_b32 v69, v7 offset:17216                           // 00000000D7A8: D86C4340 45000007
	ds_read_b32 v70, v7 offset:17280                           // 00000000D7B0: D86C4380 46000007
	ds_read_b32 v71, v7 offset:17344                           // 00000000D7B8: D86C43C0 47000007
	ds_read_b32 v72, v7 offset:17408                           // 00000000D7C0: D86C4400 48000007
	ds_read_b32 v73, v7 offset:17472                           // 00000000D7C8: D86C4440 49000007
	ds_read_b32 v74, v7 offset:17536                           // 00000000D7D0: D86C4480 4A000007
	ds_read_b32 v75, v7 offset:17600                           // 00000000D7D8: D86C44C0 4B000007
	ds_read_b32 v76, v7 offset:17664                           // 00000000D7E0: D86C4500 4C000007
	ds_read_b32 v77, v7 offset:17728                           // 00000000D7E8: D86C4540 4D000007
	ds_read_b32 v78, v7 offset:17792                           // 00000000D7F0: D86C4580 4E000007
	ds_read_b32 v79, v7 offset:17856                           // 00000000D7F8: D86C45C0 4F000007
	v_cvt_f32_i32_e32 v176, v176                               // 00000000D800: 7F600BB0
	v_cvt_f32_i32_e32 v177, v177                               // 00000000D804: 7F620BB1
	v_cvt_f32_i32_e32 v178, v178                               // 00000000D808: 7F640BB2
	v_cvt_f32_i32_e32 v179, v179                               // 00000000D80C: 7F660BB3
	v_cvt_f32_i32_e32 v180, v180                               // 00000000D810: 7F680BB4
	v_cvt_f32_i32_e32 v181, v181                               // 00000000D814: 7F6A0BB5
	v_cvt_f32_i32_e32 v182, v182                               // 00000000D818: 7F6C0BB6
	v_cvt_f32_i32_e32 v183, v183                               // 00000000D81C: 7F6E0BB7
	v_mul_f32_e32 v176, v44, v176                              // 00000000D820: 0B61612C
	v_mul_f32_e32 v177, v44, v177                              // 00000000D824: 0B63632C
	v_mul_f32_e32 v178, v44, v178                              // 00000000D828: 0B65652C
	v_mul_f32_e32 v179, v44, v179                              // 00000000D82C: 0B67672C
	v_mul_f32_e32 v180, v44, v180                              // 00000000D830: 0B69692C
	v_mul_f32_e32 v181, v44, v181                              // 00000000D834: 0B6B6B2C
	v_mul_f32_e32 v182, v44, v182                              // 00000000D838: 0B6D6D2C
	v_mul_f32_e32 v183, v44, v183                              // 00000000D83C: 0B6F6F2C
	s_waitcnt lgkmcnt(0)                                       // 00000000D840: BF8CC07F
	v_max3_f32 v48, v64, v65, v48                              // 00000000D844: D1D30030 04C28340
	v_max3_f32 v48, v66, v67, v48                              // 00000000D84C: D1D30030 04C28742
	v_max3_f32 v48, v68, v69, v48                              // 00000000D854: D1D30030 04C28B44
	v_max3_f32 v48, v70, v71, v48                              // 00000000D85C: D1D30030 04C28F46
	v_max3_f32 v48, v72, v73, v48                              // 00000000D864: D1D30030 04C29348
	v_max3_f32 v48, v74, v75, v48                              // 00000000D86C: D1D30030 04C2974A
	v_max3_f32 v48, v76, v77, v48                              // 00000000D874: D1D30030 04C29B4C
	v_max3_f32 v48, v78, v79, v48                              // 00000000D87C: D1D30030 04C29F4E
	v_mov_b32_e32 v64, 0xff800000                              // 00000000D884: 7E8002FF FF800000
	v_cmp_eq_u32_e64 s[40:41], v64, v11                        // 00000000D88C: D0CA0028 00021740
	s_nop 1                                                    // 00000000D894: BF800001
	v_max_f32_e32 v15, v48, v11                                // 00000000D898: 161E1730
	v_mul_f32_e32 v53, s64, v15                                // 00000000D89C: 0A6A1E40
	v_fma_f32 v112, v112, s64, -v53                            // 00000000D8A0: D1CB0070 84D48170
	v_fma_f32 v113, v113, s64, -v53                            // 00000000D8A8: D1CB0071 84D48171
	v_fma_f32 v114, v114, s64, -v53                            // 00000000D8B0: D1CB0072 84D48172
	v_fma_f32 v115, v115, s64, -v53                            // 00000000D8B8: D1CB0073 84D48173
	v_fma_f32 v116, v116, s64, -v53                            // 00000000D8C0: D1CB0074 84D48174
	v_fma_f32 v117, v117, s64, -v53                            // 00000000D8C8: D1CB0075 84D48175
	v_fma_f32 v118, v118, s64, -v53                            // 00000000D8D0: D1CB0076 84D48176
	v_fma_f32 v119, v119, s64, -v53                            // 00000000D8D8: D1CB0077 84D48177
	v_fma_f32 v120, v120, s64, -v53                            // 00000000D8E0: D1CB0078 84D48178
	v_fma_f32 v121, v121, s64, -v53                            // 00000000D8E8: D1CB0079 84D48179
	v_fma_f32 v122, v122, s64, -v53                            // 00000000D8F0: D1CB007A 84D4817A
	v_fma_f32 v123, v123, s64, -v53                            // 00000000D8F8: D1CB007B 84D4817B
	v_fma_f32 v124, v124, s64, -v53                            // 00000000D900: D1CB007C 84D4817C
	v_fma_f32 v125, v125, s64, -v53                            // 00000000D908: D1CB007D 84D4817D
	v_fma_f32 v126, v126, s64, -v53                            // 00000000D910: D1CB007E 84D4817E
	v_fma_f32 v127, v127, s64, -v53                            // 00000000D918: D1CB007F 84D4817F
	v_exp_f32_e32 v112, v112                                   // 00000000D920: 7EE04170
	v_exp_f32_e32 v113, v113                                   // 00000000D924: 7EE24171
	v_exp_f32_e32 v114, v114                                   // 00000000D928: 7EE44172
	v_exp_f32_e32 v115, v115                                   // 00000000D92C: 7EE64173
	v_exp_f32_e32 v116, v116                                   // 00000000D930: 7EE84174
	v_exp_f32_e32 v117, v117                                   // 00000000D934: 7EEA4175
	v_exp_f32_e32 v118, v118                                   // 00000000D938: 7EEC4176
	v_exp_f32_e32 v119, v119                                   // 00000000D93C: 7EEE4177
	v_exp_f32_e32 v120, v120                                   // 00000000D940: 7EF04178
	v_exp_f32_e32 v121, v121                                   // 00000000D944: 7EF24179
	v_exp_f32_e32 v122, v122                                   // 00000000D948: 7EF4417A
	v_exp_f32_e32 v123, v123                                   // 00000000D94C: 7EF6417B
	v_exp_f32_e32 v124, v124                                   // 00000000D950: 7EF8417C
	v_exp_f32_e32 v125, v125                                   // 00000000D954: 7EFA417D
	v_exp_f32_e32 v126, v126                                   // 00000000D958: 7EFC417E
	v_exp_f32_e32 v127, v127                                   // 00000000D95C: 7EFE417F
	v_mul_f32_dpp v240, v252, v112 quad_perm:[0,0,0,0] row_mask:0xf bank_mask:0xf// 00000000D960: 0BE0E0FA FF0000FC
	v_mul_f32_dpp v241, v252, v113 quad_perm:[1,1,1,1] row_mask:0xf bank_mask:0xf// 00000000D968: 0BE2E2FA FF0055FC
	v_mul_f32_dpp v242, v252, v114 quad_perm:[2,2,2,2] row_mask:0xf bank_mask:0xf// 00000000D970: 0BE4E4FA FF00AAFC
	v_mul_f32_dpp v243, v252, v115 quad_perm:[3,3,3,3] row_mask:0xf bank_mask:0xf// 00000000D978: 0BE6E6FA FF00FFFC
	v_mul_f32_dpp v244, v253, v116 quad_perm:[0,0,0,0] row_mask:0xf bank_mask:0xf// 00000000D980: 0BE8E8FA FF0000FD
	v_mul_f32_dpp v245, v253, v117 quad_perm:[1,1,1,1] row_mask:0xf bank_mask:0xf// 00000000D988: 0BEAEAFA FF0055FD
	v_mul_f32_dpp v246, v253, v118 quad_perm:[2,2,2,2] row_mask:0xf bank_mask:0xf// 00000000D990: 0BECECFA FF00AAFD
	v_mul_f32_dpp v247, v253, v119 quad_perm:[3,3,3,3] row_mask:0xf bank_mask:0xf// 00000000D998: 0BEEEEFA FF00FFFD
	v_mul_f32_dpp v248, v254, v120 quad_perm:[0,0,0,0] row_mask:0xf bank_mask:0xf// 00000000D9A0: 0BF0F0FA FF0000FE
	v_mul_f32_dpp v249, v254, v121 quad_perm:[1,1,1,1] row_mask:0xf bank_mask:0xf// 00000000D9A8: 0BF2F2FA FF0055FE
	v_mul_f32_dpp v250, v254, v122 quad_perm:[2,2,2,2] row_mask:0xf bank_mask:0xf// 00000000D9B0: 0BF4F4FA FF00AAFE
	v_mul_f32_dpp v251, v254, v123 quad_perm:[3,3,3,3] row_mask:0xf bank_mask:0xf// 00000000D9B8: 0BF6F6FA FF00FFFE
	v_mul_f32_dpp v252, v255, v124 quad_perm:[0,0,0,0] row_mask:0xf bank_mask:0xf// 00000000D9C0: 0BF8F8FA FF0000FF
	v_mul_f32_dpp v253, v255, v125 quad_perm:[1,1,1,1] row_mask:0xf bank_mask:0xf// 00000000D9C8: 0BFAFAFA FF0055FF
	v_mul_f32_dpp v254, v255, v126 quad_perm:[2,2,2,2] row_mask:0xf bank_mask:0xf// 00000000D9D0: 0BFCFCFA FF00AAFF
	v_mul_f32_dpp v255, v255, v127 quad_perm:[3,3,3,3] row_mask:0xf bank_mask:0xf// 00000000D9D8: 0BFEFEFA FF00FFFF
	v_mov_b32_e32 v48, 0x358637bd                              // 00000000D9E0: 7E6002FF 358637BD
	v_max3_f32 v48, |v240|, |v241|, v48                        // 00000000D9E8: D1D30330 04C3E3F0
	v_max3_f32 v48, |v242|, |v243|, v48                        // 00000000D9F0: D1D30330 04C3E7F2
	v_max3_f32 v48, |v244|, |v245|, v48                        // 00000000D9F8: D1D30330 04C3EBF4
	v_max3_f32 v48, |v246|, |v247|, v48                        // 00000000DA00: D1D30330 04C3EFF6
	v_max3_f32 v48, |v248|, |v249|, v48                        // 00000000DA08: D1D30330 04C3F3F8
	v_max3_f32 v48, |v250|, |v251|, v48                        // 00000000DA10: D1D30330 04C3F7FA
	v_max3_f32 v48, |v252|, |v253|, v48                        // 00000000DA18: D1D30330 04C3FBFC
	v_max3_f32 v48, |v254|, |v255|, v48                        // 00000000DA20: D1D30330 04C3FFFE
	ds_write_b32 v8, v48 offset:20992                          // 00000000DA28: D81A5200 00003008
	v_sub_f32_e32 v49, v11, v15                                // 00000000DA30: 04621F0B
	v_cndmask_b32_e64 v49, v49, 0, s[40:41]                    // 00000000DA34: D1000031 00A10131
	v_mov_b32_e32 v11, v15                                     // 00000000DA3C: 7E16030F
	v_mul_f32_e32 v49, s64, v49                                // 00000000DA40: 0A626240
	v_exp_f32_e32 v49, v49                                     // 00000000DA44: 7E624131
	s_waitcnt lgkmcnt(0)                                       // 00000000DA48: BF8CC07F
	s_barrier                                                  // 00000000DA4C: BF8A0000
	ds_read_b32 v64, v7 offset:20992                           // 00000000DA50: D86C5200 40000007
	ds_read_b32 v65, v7 offset:21056                           // 00000000DA58: D86C5240 41000007
	ds_read_b32 v66, v7 offset:21120                           // 00000000DA60: D86C5280 42000007
	ds_read_b32 v67, v7 offset:21184                           // 00000000DA68: D86C52C0 43000007
	ds_read_b32 v68, v7 offset:21248                           // 00000000DA70: D86C5300 44000007
	ds_read_b32 v69, v7 offset:21312                           // 00000000DA78: D86C5340 45000007
	ds_read_b32 v70, v7 offset:21376                           // 00000000DA80: D86C5380 46000007
	ds_read_b32 v71, v7 offset:21440                           // 00000000DA88: D86C53C0 47000007
	ds_read_b32 v72, v7 offset:21504                           // 00000000DA90: D86C5400 48000007
	ds_read_b32 v73, v7 offset:21568                           // 00000000DA98: D86C5440 49000007
	ds_read_b32 v74, v7 offset:21632                           // 00000000DAA0: D86C5480 4A000007
	ds_read_b32 v75, v7 offset:21696                           // 00000000DAA8: D86C54C0 4B000007
	ds_read_b32 v76, v7 offset:21760                           // 00000000DAB0: D86C5500 4C000007
	ds_read_b32 v77, v7 offset:21824                           // 00000000DAB8: D86C5540 4D000007
	ds_read_b32 v78, v7 offset:21888                           // 00000000DAC0: D86C5580 4E000007
	ds_read_b32 v79, v7 offset:21952                           // 00000000DAC8: D86C55C0 4F000007
	v_mul_f32_e32 v38, v49, v38                                // 00000000DAD0: 0A4C4D31
	v_mov_b32_e32 v15, v112                                    // 00000000DAD4: 7E1E0370
	v_add_f32_e32 v15, v113, v15                               // 00000000DAD8: 021E1F71
	v_add_f32_e32 v15, v114, v15                               // 00000000DADC: 021E1F72
	v_add_f32_e32 v15, v115, v15                               // 00000000DAE0: 021E1F73
	v_add_f32_e32 v15, v116, v15                               // 00000000DAE4: 021E1F74
	v_add_f32_e32 v15, v117, v15                               // 00000000DAE8: 021E1F75
	v_add_f32_e32 v15, v118, v15                               // 00000000DAEC: 021E1F76
	v_add_f32_e32 v15, v119, v15                               // 00000000DAF0: 021E1F77
	v_add_f32_e32 v15, v120, v15                               // 00000000DAF4: 021E1F78
	v_add_f32_e32 v15, v121, v15                               // 00000000DAF8: 021E1F79
	v_add_f32_e32 v15, v122, v15                               // 00000000DAFC: 021E1F7A
	v_add_f32_e32 v15, v123, v15                               // 00000000DB00: 021E1F7B
	v_add_f32_e32 v15, v124, v15                               // 00000000DB04: 021E1F7C
	v_add_f32_e32 v15, v125, v15                               // 00000000DB08: 021E1F7D
	v_add_f32_e32 v15, v126, v15                               // 00000000DB0C: 021E1F7E
	v_add_f32_e32 v15, v127, v15                               // 00000000DB10: 021E1F7F
	v_add_f32_e32 v38, v15, v38                                // 00000000DB14: 024C4D0F
	s_waitcnt lgkmcnt(0)                                       // 00000000DB18: BF8CC07F
	v_max3_f32 v48, |v64|, |v65|, v48                          // 00000000DB1C: D1D30330 04C28340
	v_max3_f32 v48, |v66|, |v67|, v48                          // 00000000DB24: D1D30330 04C28742
	v_max3_f32 v48, |v68|, |v69|, v48                          // 00000000DB2C: D1D30330 04C28B44
	v_max3_f32 v48, |v70|, |v71|, v48                          // 00000000DB34: D1D30330 04C28F46
	v_max3_f32 v48, |v72|, |v73|, v48                          // 00000000DB3C: D1D30330 04C29348
	v_max3_f32 v48, |v74|, |v75|, v48                          // 00000000DB44: D1D30330 04C2974A
	v_max3_f32 v48, |v76|, |v77|, v48                          // 00000000DB4C: D1D30330 04C29B4C
	v_max3_f32 v48, |v78|, |v79|, v48                          // 00000000DB54: D1D30330 04C29F4E
	s_nop 2                                                    // 00000000DB5C: BF800002
	v_rcp_f32_e32 v48, v48                                     // 00000000DB60: 7E604530
	s_nop 1                                                    // 00000000DB64: BF800001
	v_mul_f32_e32 v48, 0x42fe0000, v48                         // 00000000DB68: 0A6060FF 42FE0000
	v_mul_f32_e32 v112, v48, v240                              // 00000000DB70: 0AE1E130
	v_mul_f32_e32 v113, v48, v241                              // 00000000DB74: 0AE3E330
	v_mul_f32_e32 v114, v48, v242                              // 00000000DB78: 0AE5E530
	v_mul_f32_e32 v115, v48, v243                              // 00000000DB7C: 0AE7E730
	v_mul_f32_e32 v116, v48, v244                              // 00000000DB80: 0AE9E930
	v_mul_f32_e32 v117, v48, v245                              // 00000000DB84: 0AEBEB30
	v_mul_f32_e32 v118, v48, v246                              // 00000000DB88: 0AEDED30
	v_mul_f32_e32 v119, v48, v247                              // 00000000DB8C: 0AEFEF30
	v_mul_f32_e32 v120, v48, v248                              // 00000000DB90: 0AF1F130
	v_mul_f32_e32 v121, v48, v249                              // 00000000DB94: 0AF3F330
	v_mul_f32_e32 v122, v48, v250                              // 00000000DB98: 0AF5F530
	v_mul_f32_e32 v123, v48, v251                              // 00000000DB9C: 0AF7F730
	v_mul_f32_e32 v124, v48, v252                              // 00000000DBA0: 0AF9F930
	v_mul_f32_e32 v125, v48, v253                              // 00000000DBA4: 0AFBFB30
	v_mul_f32_e32 v126, v48, v254                              // 00000000DBA8: 0AFDFD30
	v_mul_f32_e32 v127, v48, v255                              // 00000000DBAC: 0AFFFF30
	v_cvt_i32_f32_e32 v112, v112                               // 00000000DBB0: 7EE01170
	v_cvt_i32_f32_e32 v113, v113                               // 00000000DBB4: 7EE21171
	v_cvt_i32_f32_e32 v114, v114                               // 00000000DBB8: 7EE41172
	v_cvt_i32_f32_e32 v115, v115                               // 00000000DBBC: 7EE61173
	v_cvt_i32_f32_e32 v116, v116                               // 00000000DBC0: 7EE81174
	v_cvt_i32_f32_e32 v117, v117                               // 00000000DBC4: 7EEA1175
	v_cvt_i32_f32_e32 v118, v118                               // 00000000DBC8: 7EEC1176
	v_cvt_i32_f32_e32 v119, v119                               // 00000000DBCC: 7EEE1177
	v_cvt_i32_f32_e32 v120, v120                               // 00000000DBD0: 7EF01178
	v_cvt_i32_f32_e32 v121, v121                               // 00000000DBD4: 7EF21179
	v_cvt_i32_f32_e32 v122, v122                               // 00000000DBD8: 7EF4117A
	v_cvt_i32_f32_e32 v123, v123                               // 00000000DBDC: 7EF6117B
	v_cvt_i32_f32_e32 v124, v124                               // 00000000DBE0: 7EF8117C
	v_cvt_i32_f32_e32 v125, v125                               // 00000000DBE4: 7EFA117D
	v_cvt_i32_f32_e32 v126, v126                               // 00000000DBE8: 7EFC117E
	v_cvt_i32_f32_e32 v127, v127                               // 00000000DBEC: 7EFE117F
	v_perm_b32 v112, v113, v112, s53                           // 00000000DBF0: D1ED0070 00D6E171
	v_perm_b32 v112, v114, v112, s54                           // 00000000DBF8: D1ED0070 00DAE172
	v_perm_b32 v112, v115, v112, s55                           // 00000000DC00: D1ED0070 00DEE173
	v_perm_b32 v113, v117, v116, s53                           // 00000000DC08: D1ED0071 00D6E975
	v_perm_b32 v113, v118, v113, s54                           // 00000000DC10: D1ED0071 00DAE376
	v_perm_b32 v113, v119, v113, s55                           // 00000000DC18: D1ED0071 00DEE377
	v_perm_b32 v114, v121, v120, s53                           // 00000000DC20: D1ED0072 00D6F179
	v_perm_b32 v114, v122, v114, s54                           // 00000000DC28: D1ED0072 00DAE57A
	v_perm_b32 v114, v123, v114, s55                           // 00000000DC30: D1ED0072 00DEE57B
	v_perm_b32 v115, v125, v124, s53                           // 00000000DC38: D1ED0073 00D6F97D
	v_perm_b32 v115, v126, v115, s54                           // 00000000DC40: D1ED0073 00DAE77E
	v_perm_b32 v115, v127, v115, s55                           // 00000000DC48: D1ED0073 00DEE77F
	ds_write_b32 v10, v112 offset:25088                        // 00000000DC50: D81A6200 0000700A
	ds_write_b32 v10, v113 offset:26112                        // 00000000DC58: D81A6600 0000710A
	ds_write_b32 v10, v114 offset:27136                        // 00000000DC60: D81A6A00 0000720A
	ds_write_b32 v10, v115 offset:28160                        // 00000000DC68: D81A6E00 0000730A
	v_add_f32_e32 v208, v208, v176                             // 00000000DC70: 03A161D0
	v_add_f32_e32 v209, v209, v177                             // 00000000DC74: 03A363D1
	v_add_f32_e32 v210, v210, v178                             // 00000000DC78: 03A565D2
	v_add_f32_e32 v211, v211, v179                             // 00000000DC7C: 03A767D3
	v_add_f32_e32 v212, v212, v180                             // 00000000DC80: 03A969D4
	v_add_f32_e32 v213, v213, v181                             // 00000000DC84: 03AB6BD5
	v_add_f32_e32 v214, v214, v182                             // 00000000DC88: 03AD6DD6
	v_add_f32_e32 v215, v215, v183                             // 00000000DC8C: 03AF6FD7
	v_rcp_f32_e32 v44, v48                                     // 00000000DC90: 7E584530
	s_waitcnt lgkmcnt(0)                                       // 00000000DC94: BF8CC07F
	s_barrier                                                  // 00000000DC98: BF8A0000
	ds_read_b64 v[112:113], v9 offset:25088                    // 00000000DC9C: D8EC6200 70000009
	ds_read_b64 v[114:115], v9 offset:25216                    // 00000000DCA4: D8EC6280 72000009
	ds_read_b64 v[116:117], v9 offset:26112                    // 00000000DCAC: D8EC6600 74000009
	ds_read_b64 v[118:119], v9 offset:26240                    // 00000000DCB4: D8EC6680 76000009
	ds_read_b64 v[120:121], v9 offset:27136                    // 00000000DCBC: D8EC6A00 78000009
	ds_read_b64 v[122:123], v9 offset:27264                    // 00000000DCC4: D8EC6A80 7A000009
	ds_read_b64 v[124:125], v9 offset:28160                    // 00000000DCCC: D8EC6E00 7C000009
	ds_read_b64 v[126:127], v9 offset:28288                    // 00000000DCD4: D8EC6E80 7E000009
	v_mov_b32_dpp v64, v43 row_shr:4 row_mask:0xf bank_mask:0xf// 00000000DCDC: 7E8002FA FF01142B
	v_mov_b32_dpp v65, v43 row_shl:4 row_mask:0xf bank_mask:0xf// 00000000DCE4: 7E8202FA FF01042B
	v_cndmask_b32_e64 v248, v43, v64, s[44:45]                 // 00000000DCEC: D10000F8 00B2812B
	v_cndmask_b32_e64 v249, v65, v43, s[44:45]                 // 00000000DCF4: D10000F9 00B25741
	v_mov_b32_dpp v64, v248 row_shr:8 row_mask:0xf bank_mask:0xf// 00000000DCFC: 7E8002FA FF0118F8
	v_mov_b32_dpp v65, v248 row_shl:8 row_mask:0xf bank_mask:0xf// 00000000DD04: 7E8202FA FF0108F8
	v_mov_b32_dpp v66, v249 row_shr:8 row_mask:0xf bank_mask:0xf// 00000000DD0C: 7E8402FA FF0118F9
	v_mov_b32_dpp v67, v249 row_shl:8 row_mask:0xf bank_mask:0xf// 00000000DD14: 7E8602FA FF0108F9
	v_mov_b32_e32 v68, v248                                    // 00000000DD1C: 7E8803F8
	v_mov_b32_e32 v69, v249                                    // 00000000DD20: 7E8A03F9
	v_cndmask_b32_e64 v248, v68, v64, s[42:43]                 // 00000000DD24: D10000F8 00AA8144
	v_cndmask_b32_e64 v250, v68, v65, s[78:79]                 // 00000000DD2C: D10000FA 013A8344
	v_cndmask_b32_e64 v249, v69, v66, s[42:43]                 // 00000000DD34: D10000F9 00AA8545
	v_cndmask_b32_e64 v251, v69, v67, s[78:79]                 // 00000000DD3C: D10000FB 013A8745
	v_mov_b32_dpp v64, v58 row_shr:4 row_mask:0xf bank_mask:0xf// 00000000DD44: 7E8002FA FF01143A
	v_mov_b32_dpp v65, v58 row_shl:4 row_mask:0xf bank_mask:0xf// 00000000DD4C: 7E8202FA FF01043A
	v_cndmask_b32_e64 v252, v58, v64, s[44:45]                 // 00000000DD54: D10000FC 00B2813A
	v_cndmask_b32_e64 v253, v65, v58, s[44:45]                 // 00000000DD5C: D10000FD 00B27541
	v_mov_b32_dpp v64, v252 row_shr:8 row_mask:0xf bank_mask:0xf// 00000000DD64: 7E8002FA FF0118FC
	v_mov_b32_dpp v65, v252 row_shl:8 row_mask:0xf bank_mask:0xf// 00000000DD6C: 7E8202FA FF0108FC
	v_mov_b32_dpp v66, v253 row_shr:8 row_mask:0xf bank_mask:0xf// 00000000DD74: 7E8402FA FF0118FD
	v_mov_b32_dpp v67, v253 row_shl:8 row_mask:0xf bank_mask:0xf// 00000000DD7C: 7E8602FA FF0108FD
	v_mov_b32_e32 v68, v252                                    // 00000000DD84: 7E8803FC
	v_mov_b32_e32 v69, v253                                    // 00000000DD88: 7E8A03FD
	v_cndmask_b32_e64 v252, v68, v64, s[42:43]                 // 00000000DD8C: D10000FC 00AA8144
	v_cndmask_b32_e64 v254, v68, v65, s[78:79]                 // 00000000DD94: D10000FE 013A8344
	v_cndmask_b32_e64 v253, v69, v66, s[42:43]                 // 00000000DD9C: D10000FD 00AA8545
	v_cndmask_b32_e64 v255, v69, v67, s[78:79]                 // 00000000DDA4: D10000FF 013A8745
	v_cvt_f32_i32_e32 v128, v128                               // 00000000DDAC: 7F000B80
	v_cvt_f32_i32_e32 v129, v129                               // 00000000DDB0: 7F020B81
	v_cvt_f32_i32_e32 v130, v130                               // 00000000DDB4: 7F040B82
	v_cvt_f32_i32_e32 v131, v131                               // 00000000DDB8: 7F060B83
	v_cvt_f32_i32_e32 v132, v132                               // 00000000DDBC: 7F080B84
	v_cvt_f32_i32_e32 v133, v133                               // 00000000DDC0: 7F0A0B85
	v_cvt_f32_i32_e32 v134, v134                               // 00000000DDC4: 7F0C0B86
	v_cvt_f32_i32_e32 v135, v135                               // 00000000DDC8: 7F0E0B87
	v_cvt_f32_i32_e32 v136, v136                               // 00000000DDCC: 7F100B88
	v_cvt_f32_i32_e32 v137, v137                               // 00000000DDD0: 7F120B89
	v_cvt_f32_i32_e32 v138, v138                               // 00000000DDD4: 7F140B8A
	v_cvt_f32_i32_e32 v139, v139                               // 00000000DDD8: 7F160B8B
	v_cvt_f32_i32_e32 v140, v140                               // 00000000DDDC: 7F180B8C
	v_cvt_f32_i32_e32 v141, v141                               // 00000000DDE0: 7F1A0B8D
	v_cvt_f32_i32_e32 v142, v142                               // 00000000DDE4: 7F1C0B8E
	v_cvt_f32_i32_e32 v143, v143                               // 00000000DDE8: 7F1E0B8F
	v_mul_f32_e32 v128, v19, v128                              // 00000000DDEC: 0B010113
	v_mul_f32_e32 v129, v19, v129                              // 00000000DDF0: 0B030313
	v_mul_f32_e32 v130, v19, v130                              // 00000000DDF4: 0B050513
	v_mul_f32_e32 v131, v19, v131                              // 00000000DDF8: 0B070713
	v_mul_f32_e32 v132, v19, v132                              // 00000000DDFC: 0B090913
	v_mul_f32_e32 v133, v19, v133                              // 00000000DE00: 0B0B0B13
	v_mul_f32_e32 v134, v19, v134                              // 00000000DE04: 0B0D0D13
	v_mul_f32_e32 v135, v19, v135                              // 00000000DE08: 0B0F0F13
	v_mul_f32_e32 v136, v19, v136                              // 00000000DE0C: 0B111113
	v_mul_f32_e32 v137, v19, v137                              // 00000000DE10: 0B131313
	v_mul_f32_e32 v138, v19, v138                              // 00000000DE14: 0B151513
	v_mul_f32_e32 v139, v19, v139                              // 00000000DE18: 0B171713
	v_mul_f32_e32 v140, v19, v140                              // 00000000DE1C: 0B191913
	v_mul_f32_e32 v141, v19, v141                              // 00000000DE20: 0B1B1B13
	v_mul_f32_e32 v142, v19, v142                              // 00000000DE24: 0B1D1D13
	v_mul_f32_e32 v143, v19, v143                              // 00000000DE28: 0B1F1F13
	v_mul_f32_dpp v128, v248, v128 quad_perm:[0,0,0,0] row_mask:0xf bank_mask:0xf// 00000000DE2C: 0B0100FA FF0000F8
	v_mul_f32_dpp v129, v248, v129 quad_perm:[1,1,1,1] row_mask:0xf bank_mask:0xf// 00000000DE34: 0B0302FA FF0055F8
	v_mul_f32_dpp v130, v248, v130 quad_perm:[2,2,2,2] row_mask:0xf bank_mask:0xf// 00000000DE3C: 0B0504FA FF00AAF8
	v_mul_f32_dpp v131, v248, v131 quad_perm:[3,3,3,3] row_mask:0xf bank_mask:0xf// 00000000DE44: 0B0706FA FF00FFF8
	v_mul_f32_dpp v132, v249, v132 quad_perm:[0,0,0,0] row_mask:0xf bank_mask:0xf// 00000000DE4C: 0B0908FA FF0000F9
	v_mul_f32_dpp v133, v249, v133 quad_perm:[1,1,1,1] row_mask:0xf bank_mask:0xf// 00000000DE54: 0B0B0AFA FF0055F9
	v_mul_f32_dpp v134, v249, v134 quad_perm:[2,2,2,2] row_mask:0xf bank_mask:0xf// 00000000DE5C: 0B0D0CFA FF00AAF9
	v_mul_f32_dpp v135, v249, v135 quad_perm:[3,3,3,3] row_mask:0xf bank_mask:0xf// 00000000DE64: 0B0F0EFA FF00FFF9
	v_mul_f32_dpp v136, v250, v136 quad_perm:[0,0,0,0] row_mask:0xf bank_mask:0xf// 00000000DE6C: 0B1110FA FF0000FA
	v_mul_f32_dpp v137, v250, v137 quad_perm:[1,1,1,1] row_mask:0xf bank_mask:0xf// 00000000DE74: 0B1312FA FF0055FA
	v_mul_f32_dpp v138, v250, v138 quad_perm:[2,2,2,2] row_mask:0xf bank_mask:0xf// 00000000DE7C: 0B1514FA FF00AAFA
	v_mul_f32_dpp v139, v250, v139 quad_perm:[3,3,3,3] row_mask:0xf bank_mask:0xf// 00000000DE84: 0B1716FA FF00FFFA
	v_mul_f32_dpp v140, v251, v140 quad_perm:[0,0,0,0] row_mask:0xf bank_mask:0xf// 00000000DE8C: 0B1918FA FF0000FB
	v_mul_f32_dpp v141, v251, v141 quad_perm:[1,1,1,1] row_mask:0xf bank_mask:0xf// 00000000DE94: 0B1B1AFA FF0055FB
	v_mul_f32_dpp v142, v251, v142 quad_perm:[2,2,2,2] row_mask:0xf bank_mask:0xf// 00000000DE9C: 0B1D1CFA FF00AAFB
	v_mul_f32_dpp v143, v251, v143 quad_perm:[3,3,3,3] row_mask:0xf bank_mask:0xf// 00000000DEA4: 0B1F1EFA FF00FFFB
	s_and_b32 s60, s72, 0xff                                   // 00000000DEAC: 863CFF48 000000FF
	v_mov_b32_e32 v65, s60                                     // 00000000DEB4: 7E82023C
	v_lshrrev_b32_e32 v240, 4, v0                              // 00000000DEB8: 21E00084
	v_mul_i32_i24_e32 v240, 4, v240                            // 00000000DEBC: 0DE1E084
	s_mul_i32 s60, s7, 16                                      // 00000000DEC0: 923C9007
	v_add_u32_e32 v240, s60, v240                              // 00000000DEC4: 69E1E03C
	v_add_u32_e32 v241, 1, v240                                // 00000000DEC8: 69E3E081
	v_add_u32_e32 v242, 2, v240                                // 00000000DECC: 69E5E082
	v_add_u32_e32 v243, 3, v240                                // 00000000DED0: 69E7E083
	v_mov_b32_e32 v64, 0xff800000                              // 00000000DED4: 7E8002FF FF800000
	v_cmp_lt_u32_e64 s[40:41], v240, v65                       // 00000000DEDC: D0C90028 000283F0
	v_add_u32_e32 v240, 64, v240                               // 00000000DEE4: 69E1E0C0
	s_nop 0                                                    // 00000000DEE8: BF800000
	v_cndmask_b32_e64 v128, v64, v128, s[40:41]                // 00000000DEEC: D1000080 00A30140
	v_cmp_lt_u32_e64 s[40:41], v241, v65                       // 00000000DEF4: D0C90028 000283F1
	v_add_u32_e32 v241, 64, v241                               // 00000000DEFC: 69E3E2C0
	s_nop 0                                                    // 00000000DF00: BF800000
	v_cndmask_b32_e64 v129, v64, v129, s[40:41]                // 00000000DF04: D1000081 00A30340
	v_cmp_lt_u32_e64 s[40:41], v242, v65                       // 00000000DF0C: D0C90028 000283F2
	v_add_u32_e32 v242, 64, v242                               // 00000000DF14: 69E5E4C0
	s_nop 0                                                    // 00000000DF18: BF800000
	v_cndmask_b32_e64 v130, v64, v130, s[40:41]                // 00000000DF1C: D1000082 00A30540
	v_cmp_lt_u32_e64 s[40:41], v243, v65                       // 00000000DF24: D0C90028 000283F3
	v_add_u32_e32 v243, 64, v243                               // 00000000DF2C: 69E7E6C0
	s_nop 0                                                    // 00000000DF30: BF800000
	v_cndmask_b32_e64 v131, v64, v131, s[40:41]                // 00000000DF34: D1000083 00A30740
	v_cmp_lt_u32_e64 s[40:41], v240, v65                       // 00000000DF3C: D0C90028 000283F0
	v_add_u32_e32 v240, 64, v240                               // 00000000DF44: 69E1E0C0
	s_nop 0                                                    // 00000000DF48: BF800000
	v_cndmask_b32_e64 v132, v64, v132, s[40:41]                // 00000000DF4C: D1000084 00A30940
	v_cmp_lt_u32_e64 s[40:41], v241, v65                       // 00000000DF54: D0C90028 000283F1
	v_add_u32_e32 v241, 64, v241                               // 00000000DF5C: 69E3E2C0
	s_nop 0                                                    // 00000000DF60: BF800000
	v_cndmask_b32_e64 v133, v64, v133, s[40:41]                // 00000000DF64: D1000085 00A30B40
	v_cmp_lt_u32_e64 s[40:41], v242, v65                       // 00000000DF6C: D0C90028 000283F2
	v_add_u32_e32 v242, 64, v242                               // 00000000DF74: 69E5E4C0
	s_nop 0                                                    // 00000000DF78: BF800000
	v_cndmask_b32_e64 v134, v64, v134, s[40:41]                // 00000000DF7C: D1000086 00A30D40
	v_cmp_lt_u32_e64 s[40:41], v243, v65                       // 00000000DF84: D0C90028 000283F3
	v_add_u32_e32 v243, 64, v243                               // 00000000DF8C: 69E7E6C0
	s_nop 0                                                    // 00000000DF90: BF800000
	v_cndmask_b32_e64 v135, v64, v135, s[40:41]                // 00000000DF94: D1000087 00A30F40
	v_cmp_lt_u32_e64 s[40:41], v240, v65                       // 00000000DF9C: D0C90028 000283F0
	v_add_u32_e32 v240, 64, v240                               // 00000000DFA4: 69E1E0C0
	s_nop 0                                                    // 00000000DFA8: BF800000
	v_cndmask_b32_e64 v136, v64, v136, s[40:41]                // 00000000DFAC: D1000088 00A31140
	v_cmp_lt_u32_e64 s[40:41], v241, v65                       // 00000000DFB4: D0C90028 000283F1
	v_add_u32_e32 v241, 64, v241                               // 00000000DFBC: 69E3E2C0
	s_nop 0                                                    // 00000000DFC0: BF800000
	v_cndmask_b32_e64 v137, v64, v137, s[40:41]                // 00000000DFC4: D1000089 00A31340
	v_cmp_lt_u32_e64 s[40:41], v242, v65                       // 00000000DFCC: D0C90028 000283F2
	v_add_u32_e32 v242, 64, v242                               // 00000000DFD4: 69E5E4C0
	s_nop 0                                                    // 00000000DFD8: BF800000
	v_cndmask_b32_e64 v138, v64, v138, s[40:41]                // 00000000DFDC: D100008A 00A31540
	v_cmp_lt_u32_e64 s[40:41], v243, v65                       // 00000000DFE4: D0C90028 000283F3
	v_add_u32_e32 v243, 64, v243                               // 00000000DFEC: 69E7E6C0
	s_nop 0                                                    // 00000000DFF0: BF800000
	v_cndmask_b32_e64 v139, v64, v139, s[40:41]                // 00000000DFF4: D100008B 00A31740
	v_cmp_lt_u32_e64 s[40:41], v240, v65                       // 00000000DFFC: D0C90028 000283F0
	v_add_u32_e32 v240, 64, v240                               // 00000000E004: 69E1E0C0
	s_nop 0                                                    // 00000000E008: BF800000
	v_cndmask_b32_e64 v140, v64, v140, s[40:41]                // 00000000E00C: D100008C 00A31940
	v_cmp_lt_u32_e64 s[40:41], v241, v65                       // 00000000E014: D0C90028 000283F1
	v_add_u32_e32 v241, 64, v241                               // 00000000E01C: 69E3E2C0
	s_nop 0                                                    // 00000000E020: BF800000
	v_cndmask_b32_e64 v141, v64, v141, s[40:41]                // 00000000E024: D100008D 00A31B40
	v_cmp_lt_u32_e64 s[40:41], v242, v65                       // 00000000E02C: D0C90028 000283F2
	v_add_u32_e32 v242, 64, v242                               // 00000000E034: 69E5E4C0
	s_nop 0                                                    // 00000000E038: BF800000
	v_cndmask_b32_e64 v142, v64, v142, s[40:41]                // 00000000E03C: D100008E 00A31D40
	v_cmp_lt_u32_e64 s[40:41], v243, v65                       // 00000000E044: D0C90028 000283F3
	v_add_u32_e32 v243, 64, v243                               // 00000000E04C: 69E7E6C0
	s_nop 0                                                    // 00000000E050: BF800000
	v_cndmask_b32_e64 v143, v64, v143, s[40:41]                // 00000000E054: D100008F 00A31F40
	v_mov_b32_e32 v48, v128                                    // 00000000E05C: 7E600380
	v_max3_f32 v48, v128, v129, v48                            // 00000000E060: D1D30030 04C30380
	v_max3_f32 v48, v130, v131, v48                            // 00000000E068: D1D30030 04C30782
	v_max3_f32 v48, v132, v133, v48                            // 00000000E070: D1D30030 04C30B84
	v_max3_f32 v48, v134, v135, v48                            // 00000000E078: D1D30030 04C30F86
	v_max3_f32 v48, v136, v137, v48                            // 00000000E080: D1D30030 04C31388
	v_max3_f32 v48, v138, v139, v48                            // 00000000E088: D1D30030 04C3178A
	v_max3_f32 v48, v140, v141, v48                            // 00000000E090: D1D30030 04C31B8C
	v_max3_f32 v48, v142, v143, v48                            // 00000000E098: D1D30030 04C31F8E
	ds_write_b32 v8, v48 offset:16896                          // 00000000E0A0: D81A4200 00003008
	v_mul_f32_e32 v216, v50, v216                              // 00000000E0A8: 0BB1B132
	v_mul_f32_e32 v217, v50, v217                              // 00000000E0AC: 0BB3B332
	v_mul_f32_e32 v218, v50, v218                              // 00000000E0B0: 0BB5B532
	v_mul_f32_e32 v219, v50, v219                              // 00000000E0B4: 0BB7B732
	v_mul_f32_e32 v220, v50, v220                              // 00000000E0B8: 0BB9B932
	v_mul_f32_e32 v221, v50, v221                              // 00000000E0BC: 0BBBBB32
	v_mul_f32_e32 v222, v50, v222                              // 00000000E0C0: 0BBDBD32
	v_mul_f32_e32 v223, v50, v223                              // 00000000E0C4: 0BBFBF32
	s_waitcnt lgkmcnt(0)                                       // 00000000E0C8: BF8CC07F
	s_barrier                                                  // 00000000E0CC: BF8A0000
	ds_read_b32 v64, v7 offset:16896                           // 00000000E0D0: D86C4200 40000007
	ds_read_b32 v65, v7 offset:16960                           // 00000000E0D8: D86C4240 41000007
	ds_read_b32 v66, v7 offset:17024                           // 00000000E0E0: D86C4280 42000007
	ds_read_b32 v67, v7 offset:17088                           // 00000000E0E8: D86C42C0 43000007
	ds_read_b32 v68, v7 offset:17152                           // 00000000E0F0: D86C4300 44000007
	ds_read_b32 v69, v7 offset:17216                           // 00000000E0F8: D86C4340 45000007
	ds_read_b32 v70, v7 offset:17280                           // 00000000E100: D86C4380 46000007
	ds_read_b32 v71, v7 offset:17344                           // 00000000E108: D86C43C0 47000007
	ds_read_b32 v72, v7 offset:17408                           // 00000000E110: D86C4400 48000007
	ds_read_b32 v73, v7 offset:17472                           // 00000000E118: D86C4440 49000007
	ds_read_b32 v74, v7 offset:17536                           // 00000000E120: D86C4480 4A000007
	ds_read_b32 v75, v7 offset:17600                           // 00000000E128: D86C44C0 4B000007
	ds_read_b32 v76, v7 offset:17664                           // 00000000E130: D86C4500 4C000007
	ds_read_b32 v77, v7 offset:17728                           // 00000000E138: D86C4540 4D000007
	ds_read_b32 v78, v7 offset:17792                           // 00000000E140: D86C4580 4E000007
	ds_read_b32 v79, v7 offset:17856                           // 00000000E148: D86C45C0 4F000007
	v_cvt_f32_i32_e32 v184, v184                               // 00000000E150: 7F700BB8
	v_cvt_f32_i32_e32 v185, v185                               // 00000000E154: 7F720BB9
	v_cvt_f32_i32_e32 v186, v186                               // 00000000E158: 7F740BBA
	v_cvt_f32_i32_e32 v187, v187                               // 00000000E15C: 7F760BBB
	v_cvt_f32_i32_e32 v188, v188                               // 00000000E160: 7F780BBC
	v_cvt_f32_i32_e32 v189, v189                               // 00000000E164: 7F7A0BBD
	v_cvt_f32_i32_e32 v190, v190                               // 00000000E168: 7F7C0BBE
	v_cvt_f32_i32_e32 v191, v191                               // 00000000E16C: 7F7E0BBF
	v_mul_f32_e32 v184, v45, v184                              // 00000000E170: 0B71712D
	v_mul_f32_e32 v185, v45, v185                              // 00000000E174: 0B73732D
	v_mul_f32_e32 v186, v45, v186                              // 00000000E178: 0B75752D
	v_mul_f32_e32 v187, v45, v187                              // 00000000E17C: 0B77772D
	v_mul_f32_e32 v188, v45, v188                              // 00000000E180: 0B79792D
	v_mul_f32_e32 v189, v45, v189                              // 00000000E184: 0B7B7B2D
	v_mul_f32_e32 v190, v45, v190                              // 00000000E188: 0B7D7D2D
	v_mul_f32_e32 v191, v45, v191                              // 00000000E18C: 0B7F7F2D
	s_waitcnt lgkmcnt(0)                                       // 00000000E190: BF8CC07F
	v_max3_f32 v48, v64, v65, v48                              // 00000000E194: D1D30030 04C28340
	v_max3_f32 v48, v66, v67, v48                              // 00000000E19C: D1D30030 04C28742
	v_max3_f32 v48, v68, v69, v48                              // 00000000E1A4: D1D30030 04C28B44
	v_max3_f32 v48, v70, v71, v48                              // 00000000E1AC: D1D30030 04C28F46
	v_max3_f32 v48, v72, v73, v48                              // 00000000E1B4: D1D30030 04C29348
	v_max3_f32 v48, v74, v75, v48                              // 00000000E1BC: D1D30030 04C2974A
	v_max3_f32 v48, v76, v77, v48                              // 00000000E1C4: D1D30030 04C29B4C
	v_max3_f32 v48, v78, v79, v48                              // 00000000E1CC: D1D30030 04C29F4E
	v_mov_b32_e32 v64, 0xff800000                              // 00000000E1D4: 7E8002FF FF800000
	v_cmp_eq_u32_e64 s[40:41], v64, v12                        // 00000000E1DC: D0CA0028 00021940
	s_nop 1                                                    // 00000000E1E4: BF800001
	v_max_f32_e32 v15, v48, v12                                // 00000000E1E8: 161E1930
	v_mul_f32_e32 v53, s64, v15                                // 00000000E1EC: 0A6A1E40
	v_fma_f32 v128, v128, s64, -v53                            // 00000000E1F0: D1CB0080 84D48180
	v_fma_f32 v129, v129, s64, -v53                            // 00000000E1F8: D1CB0081 84D48181
	v_fma_f32 v130, v130, s64, -v53                            // 00000000E200: D1CB0082 84D48182
	v_fma_f32 v131, v131, s64, -v53                            // 00000000E208: D1CB0083 84D48183
	v_fma_f32 v132, v132, s64, -v53                            // 00000000E210: D1CB0084 84D48184
	v_fma_f32 v133, v133, s64, -v53                            // 00000000E218: D1CB0085 84D48185
	v_fma_f32 v134, v134, s64, -v53                            // 00000000E220: D1CB0086 84D48186
	v_fma_f32 v135, v135, s64, -v53                            // 00000000E228: D1CB0087 84D48187
	v_fma_f32 v136, v136, s64, -v53                            // 00000000E230: D1CB0088 84D48188
	v_fma_f32 v137, v137, s64, -v53                            // 00000000E238: D1CB0089 84D48189
	v_fma_f32 v138, v138, s64, -v53                            // 00000000E240: D1CB008A 84D4818A
	v_fma_f32 v139, v139, s64, -v53                            // 00000000E248: D1CB008B 84D4818B
	v_fma_f32 v140, v140, s64, -v53                            // 00000000E250: D1CB008C 84D4818C
	v_fma_f32 v141, v141, s64, -v53                            // 00000000E258: D1CB008D 84D4818D
	v_fma_f32 v142, v142, s64, -v53                            // 00000000E260: D1CB008E 84D4818E
	v_fma_f32 v143, v143, s64, -v53                            // 00000000E268: D1CB008F 84D4818F
	v_exp_f32_e32 v128, v128                                   // 00000000E270: 7F004180
	v_exp_f32_e32 v129, v129                                   // 00000000E274: 7F024181
	v_exp_f32_e32 v130, v130                                   // 00000000E278: 7F044182
	v_exp_f32_e32 v131, v131                                   // 00000000E27C: 7F064183
	v_exp_f32_e32 v132, v132                                   // 00000000E280: 7F084184
	v_exp_f32_e32 v133, v133                                   // 00000000E284: 7F0A4185
	v_exp_f32_e32 v134, v134                                   // 00000000E288: 7F0C4186
	v_exp_f32_e32 v135, v135                                   // 00000000E28C: 7F0E4187
	v_exp_f32_e32 v136, v136                                   // 00000000E290: 7F104188
	v_exp_f32_e32 v137, v137                                   // 00000000E294: 7F124189
	v_exp_f32_e32 v138, v138                                   // 00000000E298: 7F14418A
	v_exp_f32_e32 v139, v139                                   // 00000000E29C: 7F16418B
	v_exp_f32_e32 v140, v140                                   // 00000000E2A0: 7F18418C
	v_exp_f32_e32 v141, v141                                   // 00000000E2A4: 7F1A418D
	v_exp_f32_e32 v142, v142                                   // 00000000E2A8: 7F1C418E
	v_exp_f32_e32 v143, v143                                   // 00000000E2AC: 7F1E418F
	v_mul_f32_dpp v240, v252, v128 quad_perm:[0,0,0,0] row_mask:0xf bank_mask:0xf// 00000000E2B0: 0BE100FA FF0000FC
	v_mul_f32_dpp v241, v252, v129 quad_perm:[1,1,1,1] row_mask:0xf bank_mask:0xf// 00000000E2B8: 0BE302FA FF0055FC
	v_mul_f32_dpp v242, v252, v130 quad_perm:[2,2,2,2] row_mask:0xf bank_mask:0xf// 00000000E2C0: 0BE504FA FF00AAFC
	v_mul_f32_dpp v243, v252, v131 quad_perm:[3,3,3,3] row_mask:0xf bank_mask:0xf// 00000000E2C8: 0BE706FA FF00FFFC
	v_mul_f32_dpp v244, v253, v132 quad_perm:[0,0,0,0] row_mask:0xf bank_mask:0xf// 00000000E2D0: 0BE908FA FF0000FD
	v_mul_f32_dpp v245, v253, v133 quad_perm:[1,1,1,1] row_mask:0xf bank_mask:0xf// 00000000E2D8: 0BEB0AFA FF0055FD
	v_mul_f32_dpp v246, v253, v134 quad_perm:[2,2,2,2] row_mask:0xf bank_mask:0xf// 00000000E2E0: 0BED0CFA FF00AAFD
	v_mul_f32_dpp v247, v253, v135 quad_perm:[3,3,3,3] row_mask:0xf bank_mask:0xf// 00000000E2E8: 0BEF0EFA FF00FFFD
	v_mul_f32_dpp v248, v254, v136 quad_perm:[0,0,0,0] row_mask:0xf bank_mask:0xf// 00000000E2F0: 0BF110FA FF0000FE
	v_mul_f32_dpp v249, v254, v137 quad_perm:[1,1,1,1] row_mask:0xf bank_mask:0xf// 00000000E2F8: 0BF312FA FF0055FE
	v_mul_f32_dpp v250, v254, v138 quad_perm:[2,2,2,2] row_mask:0xf bank_mask:0xf// 00000000E300: 0BF514FA FF00AAFE
	v_mul_f32_dpp v251, v254, v139 quad_perm:[3,3,3,3] row_mask:0xf bank_mask:0xf// 00000000E308: 0BF716FA FF00FFFE
	v_mul_f32_dpp v252, v255, v140 quad_perm:[0,0,0,0] row_mask:0xf bank_mask:0xf// 00000000E310: 0BF918FA FF0000FF
	v_mul_f32_dpp v253, v255, v141 quad_perm:[1,1,1,1] row_mask:0xf bank_mask:0xf// 00000000E318: 0BFB1AFA FF0055FF
	v_mul_f32_dpp v254, v255, v142 quad_perm:[2,2,2,2] row_mask:0xf bank_mask:0xf// 00000000E320: 0BFD1CFA FF00AAFF
	v_mul_f32_dpp v255, v255, v143 quad_perm:[3,3,3,3] row_mask:0xf bank_mask:0xf// 00000000E328: 0BFF1EFA FF00FFFF
	v_mov_b32_e32 v48, 0x358637bd                              // 00000000E330: 7E6002FF 358637BD
	v_max3_f32 v48, |v240|, |v241|, v48                        // 00000000E338: D1D30330 04C3E3F0
	v_max3_f32 v48, |v242|, |v243|, v48                        // 00000000E340: D1D30330 04C3E7F2
	v_max3_f32 v48, |v244|, |v245|, v48                        // 00000000E348: D1D30330 04C3EBF4
	v_max3_f32 v48, |v246|, |v247|, v48                        // 00000000E350: D1D30330 04C3EFF6
	v_max3_f32 v48, |v248|, |v249|, v48                        // 00000000E358: D1D30330 04C3F3F8
	v_max3_f32 v48, |v250|, |v251|, v48                        // 00000000E360: D1D30330 04C3F7FA
	v_max3_f32 v48, |v252|, |v253|, v48                        // 00000000E368: D1D30330 04C3FBFC
	v_max3_f32 v48, |v254|, |v255|, v48                        // 00000000E370: D1D30330 04C3FFFE
	ds_write_b32 v8, v48 offset:20992                          // 00000000E378: D81A5200 00003008
	v_sub_f32_e32 v50, v12, v15                                // 00000000E380: 04641F0C
	v_cndmask_b32_e64 v50, v50, 0, s[40:41]                    // 00000000E384: D1000032 00A10132
	v_mov_b32_e32 v12, v15                                     // 00000000E38C: 7E18030F
	v_mul_f32_e32 v50, s64, v50                                // 00000000E390: 0A646440
	v_exp_f32_e32 v50, v50                                     // 00000000E394: 7E644132
	s_waitcnt lgkmcnt(0)                                       // 00000000E398: BF8CC07F
	s_barrier                                                  // 00000000E39C: BF8A0000
	ds_read_b32 v64, v7 offset:20992                           // 00000000E3A0: D86C5200 40000007
	ds_read_b32 v65, v7 offset:21056                           // 00000000E3A8: D86C5240 41000007
	ds_read_b32 v66, v7 offset:21120                           // 00000000E3B0: D86C5280 42000007
	ds_read_b32 v67, v7 offset:21184                           // 00000000E3B8: D86C52C0 43000007
	ds_read_b32 v68, v7 offset:21248                           // 00000000E3C0: D86C5300 44000007
	ds_read_b32 v69, v7 offset:21312                           // 00000000E3C8: D86C5340 45000007
	ds_read_b32 v70, v7 offset:21376                           // 00000000E3D0: D86C5380 46000007
	ds_read_b32 v71, v7 offset:21440                           // 00000000E3D8: D86C53C0 47000007
	ds_read_b32 v72, v7 offset:21504                           // 00000000E3E0: D86C5400 48000007
	ds_read_b32 v73, v7 offset:21568                           // 00000000E3E8: D86C5440 49000007
	ds_read_b32 v74, v7 offset:21632                           // 00000000E3F0: D86C5480 4A000007
	ds_read_b32 v75, v7 offset:21696                           // 00000000E3F8: D86C54C0 4B000007
	ds_read_b32 v76, v7 offset:21760                           // 00000000E400: D86C5500 4C000007
	ds_read_b32 v77, v7 offset:21824                           // 00000000E408: D86C5540 4D000007
	ds_read_b32 v78, v7 offset:21888                           // 00000000E410: D86C5580 4E000007
	ds_read_b32 v79, v7 offset:21952                           // 00000000E418: D86C55C0 4F000007
	v_mul_f32_e32 v39, v50, v39                                // 00000000E420: 0A4E4F32
	v_mov_b32_e32 v15, v128                                    // 00000000E424: 7E1E0380
	v_add_f32_e32 v15, v129, v15                               // 00000000E428: 021E1F81
	v_add_f32_e32 v15, v130, v15                               // 00000000E42C: 021E1F82
	v_add_f32_e32 v15, v131, v15                               // 00000000E430: 021E1F83
	v_add_f32_e32 v15, v132, v15                               // 00000000E434: 021E1F84
	v_add_f32_e32 v15, v133, v15                               // 00000000E438: 021E1F85
	v_add_f32_e32 v15, v134, v15                               // 00000000E43C: 021E1F86
	v_add_f32_e32 v15, v135, v15                               // 00000000E440: 021E1F87
	v_add_f32_e32 v15, v136, v15                               // 00000000E444: 021E1F88
	v_add_f32_e32 v15, v137, v15                               // 00000000E448: 021E1F89
	v_add_f32_e32 v15, v138, v15                               // 00000000E44C: 021E1F8A
	v_add_f32_e32 v15, v139, v15                               // 00000000E450: 021E1F8B
	v_add_f32_e32 v15, v140, v15                               // 00000000E454: 021E1F8C
	v_add_f32_e32 v15, v141, v15                               // 00000000E458: 021E1F8D
	v_add_f32_e32 v15, v142, v15                               // 00000000E45C: 021E1F8E
	v_add_f32_e32 v15, v143, v15                               // 00000000E460: 021E1F8F
	v_add_f32_e32 v39, v15, v39                                // 00000000E464: 024E4F0F
	s_waitcnt lgkmcnt(0)                                       // 00000000E468: BF8CC07F
	v_max3_f32 v48, |v64|, |v65|, v48                          // 00000000E46C: D1D30330 04C28340
	v_max3_f32 v48, |v66|, |v67|, v48                          // 00000000E474: D1D30330 04C28742
	v_max3_f32 v48, |v68|, |v69|, v48                          // 00000000E47C: D1D30330 04C28B44
	v_max3_f32 v48, |v70|, |v71|, v48                          // 00000000E484: D1D30330 04C28F46
	v_max3_f32 v48, |v72|, |v73|, v48                          // 00000000E48C: D1D30330 04C29348
	v_max3_f32 v48, |v74|, |v75|, v48                          // 00000000E494: D1D30330 04C2974A
	v_max3_f32 v48, |v76|, |v77|, v48                          // 00000000E49C: D1D30330 04C29B4C
	v_max3_f32 v48, |v78|, |v79|, v48                          // 00000000E4A4: D1D30330 04C29F4E
	s_nop 2                                                    // 00000000E4AC: BF800002
	v_rcp_f32_e32 v48, v48                                     // 00000000E4B0: 7E604530
	s_nop 1                                                    // 00000000E4B4: BF800001
	v_mul_f32_e32 v48, 0x42fe0000, v48                         // 00000000E4B8: 0A6060FF 42FE0000
	v_mul_f32_e32 v128, v48, v240                              // 00000000E4C0: 0B01E130
	v_mul_f32_e32 v129, v48, v241                              // 00000000E4C4: 0B03E330
	v_mul_f32_e32 v130, v48, v242                              // 00000000E4C8: 0B05E530
	v_mul_f32_e32 v131, v48, v243                              // 00000000E4CC: 0B07E730
	v_mul_f32_e32 v132, v48, v244                              // 00000000E4D0: 0B09E930
	v_mul_f32_e32 v133, v48, v245                              // 00000000E4D4: 0B0BEB30
	v_mul_f32_e32 v134, v48, v246                              // 00000000E4D8: 0B0DED30
	v_mul_f32_e32 v135, v48, v247                              // 00000000E4DC: 0B0FEF30
	v_mul_f32_e32 v136, v48, v248                              // 00000000E4E0: 0B11F130
	v_mul_f32_e32 v137, v48, v249                              // 00000000E4E4: 0B13F330
	v_mul_f32_e32 v138, v48, v250                              // 00000000E4E8: 0B15F530
	v_mul_f32_e32 v139, v48, v251                              // 00000000E4EC: 0B17F730
	v_mul_f32_e32 v140, v48, v252                              // 00000000E4F0: 0B19F930
	v_mul_f32_e32 v141, v48, v253                              // 00000000E4F4: 0B1BFB30
	v_mul_f32_e32 v142, v48, v254                              // 00000000E4F8: 0B1DFD30
	v_mul_f32_e32 v143, v48, v255                              // 00000000E4FC: 0B1FFF30
	v_cvt_i32_f32_e32 v128, v128                               // 00000000E500: 7F001180
	v_cvt_i32_f32_e32 v129, v129                               // 00000000E504: 7F021181
	v_cvt_i32_f32_e32 v130, v130                               // 00000000E508: 7F041182
	v_cvt_i32_f32_e32 v131, v131                               // 00000000E50C: 7F061183
	v_cvt_i32_f32_e32 v132, v132                               // 00000000E510: 7F081184
	v_cvt_i32_f32_e32 v133, v133                               // 00000000E514: 7F0A1185
	v_cvt_i32_f32_e32 v134, v134                               // 00000000E518: 7F0C1186
	v_cvt_i32_f32_e32 v135, v135                               // 00000000E51C: 7F0E1187
	v_cvt_i32_f32_e32 v136, v136                               // 00000000E520: 7F101188
	v_cvt_i32_f32_e32 v137, v137                               // 00000000E524: 7F121189
	v_cvt_i32_f32_e32 v138, v138                               // 00000000E528: 7F14118A
	v_cvt_i32_f32_e32 v139, v139                               // 00000000E52C: 7F16118B
	v_cvt_i32_f32_e32 v140, v140                               // 00000000E530: 7F18118C
	v_cvt_i32_f32_e32 v141, v141                               // 00000000E534: 7F1A118D
	v_cvt_i32_f32_e32 v142, v142                               // 00000000E538: 7F1C118E
	v_cvt_i32_f32_e32 v143, v143                               // 00000000E53C: 7F1E118F
	v_perm_b32 v128, v129, v128, s53                           // 00000000E540: D1ED0080 00D70181
	v_perm_b32 v128, v130, v128, s54                           // 00000000E548: D1ED0080 00DB0182
	v_perm_b32 v128, v131, v128, s55                           // 00000000E550: D1ED0080 00DF0183
	v_perm_b32 v129, v133, v132, s53                           // 00000000E558: D1ED0081 00D70985
	v_perm_b32 v129, v134, v129, s54                           // 00000000E560: D1ED0081 00DB0386
	v_perm_b32 v129, v135, v129, s55                           // 00000000E568: D1ED0081 00DF0387
	v_perm_b32 v130, v137, v136, s53                           // 00000000E570: D1ED0082 00D71189
	v_perm_b32 v130, v138, v130, s54                           // 00000000E578: D1ED0082 00DB058A
	v_perm_b32 v130, v139, v130, s55                           // 00000000E580: D1ED0082 00DF058B
	v_perm_b32 v131, v141, v140, s53                           // 00000000E588: D1ED0083 00D7198D
	v_perm_b32 v131, v142, v131, s54                           // 00000000E590: D1ED0083 00DB078E
	v_perm_b32 v131, v143, v131, s55                           // 00000000E598: D1ED0083 00DF078F
	ds_write_b32 v10, v128 offset:29184                        // 00000000E5A0: D81A7200 0000800A
	ds_write_b32 v10, v129 offset:30208                        // 00000000E5A8: D81A7600 0000810A
	ds_write_b32 v10, v130 offset:31232                        // 00000000E5B0: D81A7A00 0000820A
	ds_write_b32 v10, v131 offset:32256                        // 00000000E5B8: D81A7E00 0000830A
	v_add_f32_e32 v216, v216, v184                             // 00000000E5C0: 03B171D8
	v_add_f32_e32 v217, v217, v185                             // 00000000E5C4: 03B373D9
	v_add_f32_e32 v218, v218, v186                             // 00000000E5C8: 03B575DA
	v_add_f32_e32 v219, v219, v187                             // 00000000E5CC: 03B777DB
	v_add_f32_e32 v220, v220, v188                             // 00000000E5D0: 03B979DC
	v_add_f32_e32 v221, v221, v189                             // 00000000E5D4: 03BB7BDD
	v_add_f32_e32 v222, v222, v190                             // 00000000E5D8: 03BD7DDE
	v_add_f32_e32 v223, v223, v191                             // 00000000E5DC: 03BF7FDF
	v_rcp_f32_e32 v45, v48                                     // 00000000E5E0: 7E5A4530
	s_waitcnt lgkmcnt(0)                                       // 00000000E5E4: BF8CC07F
	s_barrier                                                  // 00000000E5E8: BF8A0000
	ds_read_b64 v[128:129], v9 offset:29184                    // 00000000E5EC: D8EC7200 80000009
	ds_read_b64 v[130:131], v9 offset:29312                    // 00000000E5F4: D8EC7280 82000009
	ds_read_b64 v[132:133], v9 offset:30208                    // 00000000E5FC: D8EC7600 84000009
	ds_read_b64 v[134:135], v9 offset:30336                    // 00000000E604: D8EC7680 86000009
	ds_read_b64 v[136:137], v9 offset:31232                    // 00000000E60C: D8EC7A00 88000009
	ds_read_b64 v[138:139], v9 offset:31360                    // 00000000E614: D8EC7A80 8A000009
	ds_read_b64 v[140:141], v9 offset:32256                    // 00000000E61C: D8EC7E00 8C000009
	ds_read_b64 v[142:143], v9 offset:32384                    // 00000000E624: D8EC7E80 8E000009
	s_waitcnt vmcnt(0)                                         // 00000000E62C: BF8C0F70
	s_barrier                                                  // 00000000E630: BF8A0000
	v_mfma_i32_16x16x32_i8 v[176:179], a[96:97], v[112:113], 0 // 00000000E634: D3D700B0 0A02E160
	v_mfma_i32_16x16x32_i8 v[176:179], a[98:99], v[114:115], v[176:179]// 00000000E63C: D3D700B0 0EC2E562
	v_mfma_i32_16x16x32_i8 v[176:179], a[100:101], v[116:117], v[176:179]// 00000000E644: D3D700B0 0EC2E964
	v_mfma_i32_16x16x32_i8 v[176:179], a[102:103], v[118:119], v[176:179]// 00000000E64C: D3D700B0 0EC2ED66
	v_mfma_i32_16x16x32_i8 v[176:179], a[104:105], v[120:121], v[176:179]// 00000000E654: D3D700B0 0EC2F168
	v_mfma_i32_16x16x32_i8 v[176:179], a[106:107], v[122:123], v[176:179]// 00000000E65C: D3D700B0 0EC2F56A
	v_mfma_i32_16x16x32_i8 v[176:179], a[108:109], v[124:125], v[176:179]// 00000000E664: D3D700B0 0EC2F96C
	v_mfma_i32_16x16x32_i8 v[176:179], a[110:111], v[126:127], v[176:179]// 00000000E66C: D3D700B0 0EC2FD6E
	v_mfma_i32_16x16x32_i8 v[180:183], a[112:113], v[112:113], 0// 00000000E674: D3D700B4 0A02E170
	v_mfma_i32_16x16x32_i8 v[180:183], a[114:115], v[114:115], v[180:183]// 00000000E67C: D3D700B4 0ED2E572
	v_mfma_i32_16x16x32_i8 v[180:183], a[116:117], v[116:117], v[180:183]// 00000000E684: D3D700B4 0ED2E974
	v_mfma_i32_16x16x32_i8 v[180:183], a[118:119], v[118:119], v[180:183]// 00000000E68C: D3D700B4 0ED2ED76
	v_mfma_i32_16x16x32_i8 v[180:183], a[120:121], v[120:121], v[180:183]// 00000000E694: D3D700B4 0ED2F178
	v_mfma_i32_16x16x32_i8 v[180:183], a[122:123], v[122:123], v[180:183]// 00000000E69C: D3D700B4 0ED2F57A
	v_mfma_i32_16x16x32_i8 v[180:183], a[124:125], v[124:125], v[180:183]// 00000000E6A4: D3D700B4 0ED2F97C
	v_mfma_i32_16x16x32_i8 v[180:183], a[126:127], v[126:127], v[180:183]// 00000000E6AC: D3D700B4 0ED2FD7E
	v_mfma_i32_16x16x32_i8 v[184:187], a[96:97], v[128:129], 0 // 00000000E6B4: D3D700B8 0A030160
	v_mfma_i32_16x16x32_i8 v[184:187], a[98:99], v[130:131], v[184:187]// 00000000E6BC: D3D700B8 0EE30562
	v_mfma_i32_16x16x32_i8 v[184:187], a[100:101], v[132:133], v[184:187]// 00000000E6C4: D3D700B8 0EE30964
	v_mfma_i32_16x16x32_i8 v[184:187], a[102:103], v[134:135], v[184:187]// 00000000E6CC: D3D700B8 0EE30D66
	v_mfma_i32_16x16x32_i8 v[184:187], a[104:105], v[136:137], v[184:187]// 00000000E6D4: D3D700B8 0EE31168
	v_mfma_i32_16x16x32_i8 v[184:187], a[106:107], v[138:139], v[184:187]// 00000000E6DC: D3D700B8 0EE3156A
	v_mfma_i32_16x16x32_i8 v[184:187], a[108:109], v[140:141], v[184:187]// 00000000E6E4: D3D700B8 0EE3196C
	v_mfma_i32_16x16x32_i8 v[184:187], a[110:111], v[142:143], v[184:187]// 00000000E6EC: D3D700B8 0EE31D6E
	v_mfma_i32_16x16x32_i8 v[188:191], a[112:113], v[128:129], 0// 00000000E6F4: D3D700BC 0A030170
	v_mfma_i32_16x16x32_i8 v[188:191], a[114:115], v[130:131], v[188:191]// 00000000E6FC: D3D700BC 0EF30572
	v_mfma_i32_16x16x32_i8 v[188:191], a[116:117], v[132:133], v[188:191]// 00000000E704: D3D700BC 0EF30974
	v_mfma_i32_16x16x32_i8 v[188:191], a[118:119], v[134:135], v[188:191]// 00000000E70C: D3D700BC 0EF30D76
	v_mfma_i32_16x16x32_i8 v[188:191], a[120:121], v[136:137], v[188:191]// 00000000E714: D3D700BC 0EF31178
	v_mfma_i32_16x16x32_i8 v[188:191], a[122:123], v[138:139], v[188:191]// 00000000E71C: D3D700BC 0EF3157A
	v_mfma_i32_16x16x32_i8 v[188:191], a[124:125], v[140:141], v[188:191]// 00000000E724: D3D700BC 0EF3197C
	v_mfma_i32_16x16x32_i8 v[188:191], a[126:127], v[142:143], v[188:191]// 00000000E72C: D3D700BC 0EF31D7E
	s_nop 4                                                    // 00000000E734: BF800004
	s_branch label_314F                                        // 00000000E738: BF820000

000000000000e73c <label_314F>:
	v_mul_f32_e32 v208, v49, v208                              // 00000000E73C: 0BA1A131
	v_mul_f32_e32 v209, v49, v209                              // 00000000E740: 0BA3A331
	v_mul_f32_e32 v210, v49, v210                              // 00000000E744: 0BA5A531
	v_mul_f32_e32 v211, v49, v211                              // 00000000E748: 0BA7A731
	v_mul_f32_e32 v212, v49, v212                              // 00000000E74C: 0BA9A931
	v_mul_f32_e32 v213, v49, v213                              // 00000000E750: 0BABAB31
	v_mul_f32_e32 v214, v49, v214                              // 00000000E754: 0BADAD31
	v_mul_f32_e32 v215, v49, v215                              // 00000000E758: 0BAFAF31
	v_cvt_f32_i32_e32 v176, v176                               // 00000000E75C: 7F600BB0
	v_cvt_f32_i32_e32 v177, v177                               // 00000000E760: 7F620BB1
	v_cvt_f32_i32_e32 v178, v178                               // 00000000E764: 7F640BB2
	v_cvt_f32_i32_e32 v179, v179                               // 00000000E768: 7F660BB3
	v_cvt_f32_i32_e32 v180, v180                               // 00000000E76C: 7F680BB4
	v_cvt_f32_i32_e32 v181, v181                               // 00000000E770: 7F6A0BB5
	v_cvt_f32_i32_e32 v182, v182                               // 00000000E774: 7F6C0BB6
	v_cvt_f32_i32_e32 v183, v183                               // 00000000E778: 7F6E0BB7
	v_mul_f32_e32 v176, v44, v176                              // 00000000E77C: 0B61612C
	v_mul_f32_e32 v177, v44, v177                              // 00000000E780: 0B63632C
	v_mul_f32_e32 v178, v44, v178                              // 00000000E784: 0B65652C
	v_mul_f32_e32 v179, v44, v179                              // 00000000E788: 0B67672C
	v_mul_f32_e32 v180, v44, v180                              // 00000000E78C: 0B69692C
	v_mul_f32_e32 v181, v44, v181                              // 00000000E790: 0B6B6B2C
	v_mul_f32_e32 v182, v44, v182                              // 00000000E794: 0B6D6D2C
	v_mul_f32_e32 v183, v44, v183                              // 00000000E798: 0B6F6F2C
	v_add_f32_e32 v208, v208, v176                             // 00000000E79C: 03A161D0
	v_add_f32_e32 v209, v209, v177                             // 00000000E7A0: 03A363D1
	v_add_f32_e32 v210, v210, v178                             // 00000000E7A4: 03A565D2
	v_add_f32_e32 v211, v211, v179                             // 00000000E7A8: 03A767D3
	v_add_f32_e32 v212, v212, v180                             // 00000000E7AC: 03A969D4
	v_add_f32_e32 v213, v213, v181                             // 00000000E7B0: 03AB6BD5
	v_add_f32_e32 v214, v214, v182                             // 00000000E7B4: 03AD6DD6
	v_add_f32_e32 v215, v215, v183                             // 00000000E7B8: 03AF6FD7
	ds_write_b32 v8, v38 offset:16896                          // 00000000E7BC: D81A4200 00002608
	s_waitcnt lgkmcnt(0)                                       // 00000000E7C4: BF8CC07F
	s_barrier                                                  // 00000000E7C8: BF8A0000
	ds_read_b32 v64, v7 offset:16896                           // 00000000E7CC: D86C4200 40000007
	ds_read_b32 v65, v7 offset:16960                           // 00000000E7D4: D86C4240 41000007
	ds_read_b32 v66, v7 offset:17024                           // 00000000E7DC: D86C4280 42000007
	ds_read_b32 v67, v7 offset:17088                           // 00000000E7E4: D86C42C0 43000007
	ds_read_b32 v68, v7 offset:17152                           // 00000000E7EC: D86C4300 44000007
	ds_read_b32 v69, v7 offset:17216                           // 00000000E7F4: D86C4340 45000007
	ds_read_b32 v70, v7 offset:17280                           // 00000000E7FC: D86C4380 46000007
	ds_read_b32 v71, v7 offset:17344                           // 00000000E804: D86C43C0 47000007
	ds_read_b32 v72, v7 offset:17408                           // 00000000E80C: D86C4400 48000007
	ds_read_b32 v73, v7 offset:17472                           // 00000000E814: D86C4440 49000007
	ds_read_b32 v74, v7 offset:17536                           // 00000000E81C: D86C4480 4A000007
	ds_read_b32 v75, v7 offset:17600                           // 00000000E824: D86C44C0 4B000007
	ds_read_b32 v76, v7 offset:17664                           // 00000000E82C: D86C4500 4C000007
	ds_read_b32 v77, v7 offset:17728                           // 00000000E834: D86C4540 4D000007
	ds_read_b32 v78, v7 offset:17792                           // 00000000E83C: D86C4580 4E000007
	ds_read_b32 v79, v7 offset:17856                           // 00000000E844: D86C45C0 4F000007
	s_waitcnt lgkmcnt(0)                                       // 00000000E84C: BF8CC07F
	v_mov_b32_e32 v38, 0                                       // 00000000E850: 7E4C0280
	v_add_f32_e32 v38, v64, v38                                // 00000000E854: 024C4D40
	v_add_f32_e32 v38, v65, v38                                // 00000000E858: 024C4D41
	v_add_f32_e32 v38, v66, v38                                // 00000000E85C: 024C4D42
	v_add_f32_e32 v38, v67, v38                                // 00000000E860: 024C4D43
	v_add_f32_e32 v38, v68, v38                                // 00000000E864: 024C4D44
	v_add_f32_e32 v38, v69, v38                                // 00000000E868: 024C4D45
	v_add_f32_e32 v38, v70, v38                                // 00000000E86C: 024C4D46
	v_add_f32_e32 v38, v71, v38                                // 00000000E870: 024C4D47
	v_add_f32_e32 v38, v72, v38                                // 00000000E874: 024C4D48
	v_add_f32_e32 v38, v73, v38                                // 00000000E878: 024C4D49
	v_add_f32_e32 v38, v74, v38                                // 00000000E87C: 024C4D4A
	v_add_f32_e32 v38, v75, v38                                // 00000000E880: 024C4D4B
	v_add_f32_e32 v38, v76, v38                                // 00000000E884: 024C4D4C
	v_add_f32_e32 v38, v77, v38                                // 00000000E888: 024C4D4D
	v_add_f32_e32 v38, v78, v38                                // 00000000E88C: 024C4D4E
	v_add_f32_e32 v38, v79, v38                                // 00000000E890: 024C4D4F
	s_nop 1                                                    // 00000000E894: BF800001
	v_rcp_f32_e32 v38, v38                                     // 00000000E898: 7E4C4526
	s_nop 1                                                    // 00000000E89C: BF800001
	v_mul_f32_e32 v208, v38, v208                              // 00000000E8A0: 0BA1A126
	v_mul_f32_e32 v209, v38, v209                              // 00000000E8A4: 0BA3A326
	v_mul_f32_e32 v210, v38, v210                              // 00000000E8A8: 0BA5A526
	v_mul_f32_e32 v211, v38, v211                              // 00000000E8AC: 0BA7A726
	v_mul_f32_e32 v212, v38, v212                              // 00000000E8B0: 0BA9A926
	v_mul_f32_e32 v213, v38, v213                              // 00000000E8B4: 0BABAB26
	v_mul_f32_e32 v214, v38, v214                              // 00000000E8B8: 0BADAD26
	v_mul_f32_e32 v215, v38, v215                              // 00000000E8BC: 0BAFAF26
	v_mov_b32_e32 v19, 0xffff0000                              // 00000000E8C0: 7E2602FF FFFF0000
	v_mov_b32_e32 v20, 0x7fff0000                              // 00000000E8C8: 7E2802FF 7FFF0000
	v_mov_b32_e32 v21, 0x7fff                                  // 00000000E8D0: 7E2A02FF 00007FFF
	v_cvt_pkrtz_f16_f32 v64, v208, v209                        // 00000000E8D8: D2960040 0003A3D0
	v_mov_b32_e32 v208, v64                                    // 00000000E8E0: 7FA00340
	v_cvt_pkrtz_f16_f32 v64, v210, v211                        // 00000000E8E4: D2960040 0003A7D2
	v_mov_b32_e32 v209, v64                                    // 00000000E8EC: 7FA20340
	v_cvt_pkrtz_f16_f32 v64, v212, v213                        // 00000000E8F0: D2960040 0003ABD4
	v_mov_b32_e32 v210, v64                                    // 00000000E8F8: 7FA40340
	v_cvt_pkrtz_f16_f32 v64, v214, v215                        // 00000000E8FC: D2960040 0003AFD6
	v_mov_b32_e32 v211, v64                                    // 00000000E904: 7FA60340
	s_nop 1                                                    // 00000000E908: BF800001
	v_lshrrev_b32_e32 v64, 4, v0                               // 00000000E90C: 20800084
	v_mul_i32_i24_e32 v68, 34, v64                             // 00000000E910: 0C8880A2
	v_and_b32_e32 v64, 15, v0                                  // 00000000E914: 2680008F
	v_mul_i32_i24_e32 v65, 2, v64                              // 00000000E918: 0C828082
	v_add_u32_e32 v68, v65, v68                                // 00000000E91C: 68888941
	s_mul_i32 s60, s7, 0x88                                    // 00000000E920: 923CFF07 00000088
	v_add_u32_e32 v68, s60, v68                                // 00000000E928: 6888883C
	v_lshlrev_b32_e32 v68, 2, v68                              // 00000000E92C: 24888882
	ds_write_b64 v68, v[208:209] offset:41472                  // 00000000E930: D89AA200 0000D044
	ds_write_b64 v68, v[210:211] offset:43648                  // 00000000E938: D89AAA80 0000D244
	v_lshrrev_b32_e32 v64, 1, v0                               // 00000000E940: 20800081
	v_mul_i32_i24_e32 v68, 34, v64                             // 00000000E944: 0C8880A2
	v_and_b32_e32 v65, 1, v0                                   // 00000000E948: 26820081
	v_add_u32_e32 v68, v65, v68                                // 00000000E94C: 68888941
	s_mul_i32 s60, s7, 2                                       // 00000000E950: 923C8207
	v_add_u32_e32 v68, s60, v68                                // 00000000E954: 6888883C
	v_lshlrev_b32_e32 v68, 2, v68                              // 00000000E958: 24888882
	s_waitcnt lgkmcnt(0)                                       // 00000000E95C: BF8CC07F
	s_barrier                                                  // 00000000E960: BF8A0000
	ds_read_b32 v208, v68 offset:41472                         // 00000000E964: D86CA200 D0000044
	ds_read_b32 v209, v68 offset:41504                         // 00000000E96C: D86CA220 D1000044
	ds_read_b32 v210, v68 offset:41536                         // 00000000E974: D86CA240 D2000044
	ds_read_b32 v211, v68 offset:41568                         // 00000000E97C: D86CA260 D3000044
	s_mul_i32 s60, s7, 0x100                                   // 00000000E984: 923CFF07 00000100
	v_lshlrev_b32_e32 v64, 2, v0                               // 00000000E98C: 24800082
	v_add_u32_e64 v64, v64, s60                                // 00000000E990: D1340040 00007940
	s_waitcnt lgkmcnt(0)                                       // 00000000E998: BF8CC07F
	buffer_store_dword v208, v64, s[8:11], 0 offen             // 00000000E99C: E0701000 8002D040
	buffer_store_dword v209, v64, s[8:11], 0 offen offset:1024 // 00000000E9A4: E0701400 8002D140
	buffer_store_dword v210, v64, s[8:11], 0 offen offset:2048 // 00000000E9AC: E0701800 8002D240
	buffer_store_dword v211, v64, s[8:11], 0 offen offset:3072 // 00000000E9B4: E0701C00 8002D340
	s_add_u32 s8, s75, s8                                      // 00000000E9BC: 8008084B
	s_addc_u32 s9, 0, s9                                       // 00000000E9C0: 82090980
	v_mul_f32_e32 v216, v50, v216                              // 00000000E9C4: 0BB1B132
	v_mul_f32_e32 v217, v50, v217                              // 00000000E9C8: 0BB3B332
	v_mul_f32_e32 v218, v50, v218                              // 00000000E9CC: 0BB5B532
	v_mul_f32_e32 v219, v50, v219                              // 00000000E9D0: 0BB7B732
	v_mul_f32_e32 v220, v50, v220                              // 00000000E9D4: 0BB9B932
	v_mul_f32_e32 v221, v50, v221                              // 00000000E9D8: 0BBBBB32
	v_mul_f32_e32 v222, v50, v222                              // 00000000E9DC: 0BBDBD32
	v_mul_f32_e32 v223, v50, v223                              // 00000000E9E0: 0BBFBF32
	v_cvt_f32_i32_e32 v184, v184                               // 00000000E9E4: 7F700BB8
	v_cvt_f32_i32_e32 v185, v185                               // 00000000E9E8: 7F720BB9
	v_cvt_f32_i32_e32 v186, v186                               // 00000000E9EC: 7F740BBA
	v_cvt_f32_i32_e32 v187, v187                               // 00000000E9F0: 7F760BBB
	v_cvt_f32_i32_e32 v188, v188                               // 00000000E9F4: 7F780BBC
	v_cvt_f32_i32_e32 v189, v189                               // 00000000E9F8: 7F7A0BBD
	v_cvt_f32_i32_e32 v190, v190                               // 00000000E9FC: 7F7C0BBE
	v_cvt_f32_i32_e32 v191, v191                               // 00000000EA00: 7F7E0BBF
	v_mul_f32_e32 v184, v45, v184                              // 00000000EA04: 0B71712D
	v_mul_f32_e32 v185, v45, v185                              // 00000000EA08: 0B73732D
	v_mul_f32_e32 v186, v45, v186                              // 00000000EA0C: 0B75752D
	v_mul_f32_e32 v187, v45, v187                              // 00000000EA10: 0B77772D
	v_mul_f32_e32 v188, v45, v188                              // 00000000EA14: 0B79792D
	v_mul_f32_e32 v189, v45, v189                              // 00000000EA18: 0B7B7B2D
	v_mul_f32_e32 v190, v45, v190                              // 00000000EA1C: 0B7D7D2D
	v_mul_f32_e32 v191, v45, v191                              // 00000000EA20: 0B7F7F2D
	v_add_f32_e32 v216, v216, v184                             // 00000000EA24: 03B171D8
	v_add_f32_e32 v217, v217, v185                             // 00000000EA28: 03B373D9
	v_add_f32_e32 v218, v218, v186                             // 00000000EA2C: 03B575DA
	v_add_f32_e32 v219, v219, v187                             // 00000000EA30: 03B777DB
	v_add_f32_e32 v220, v220, v188                             // 00000000EA34: 03B979DC
	v_add_f32_e32 v221, v221, v189                             // 00000000EA38: 03BB7BDD
	v_add_f32_e32 v222, v222, v190                             // 00000000EA3C: 03BD7DDE
	v_add_f32_e32 v223, v223, v191                             // 00000000EA40: 03BF7FDF
	ds_write_b32 v8, v39 offset:16896                          // 00000000EA44: D81A4200 00002708
	s_waitcnt lgkmcnt(0)                                       // 00000000EA4C: BF8CC07F
	s_barrier                                                  // 00000000EA50: BF8A0000
	ds_read_b32 v64, v7 offset:16896                           // 00000000EA54: D86C4200 40000007
	ds_read_b32 v65, v7 offset:16960                           // 00000000EA5C: D86C4240 41000007
	ds_read_b32 v66, v7 offset:17024                           // 00000000EA64: D86C4280 42000007
	ds_read_b32 v67, v7 offset:17088                           // 00000000EA6C: D86C42C0 43000007
	ds_read_b32 v68, v7 offset:17152                           // 00000000EA74: D86C4300 44000007
	ds_read_b32 v69, v7 offset:17216                           // 00000000EA7C: D86C4340 45000007
	ds_read_b32 v70, v7 offset:17280                           // 00000000EA84: D86C4380 46000007
	ds_read_b32 v71, v7 offset:17344                           // 00000000EA8C: D86C43C0 47000007
	ds_read_b32 v72, v7 offset:17408                           // 00000000EA94: D86C4400 48000007
	ds_read_b32 v73, v7 offset:17472                           // 00000000EA9C: D86C4440 49000007
	ds_read_b32 v74, v7 offset:17536                           // 00000000EAA4: D86C4480 4A000007
	ds_read_b32 v75, v7 offset:17600                           // 00000000EAAC: D86C44C0 4B000007
	ds_read_b32 v76, v7 offset:17664                           // 00000000EAB4: D86C4500 4C000007
	ds_read_b32 v77, v7 offset:17728                           // 00000000EABC: D86C4540 4D000007
	ds_read_b32 v78, v7 offset:17792                           // 00000000EAC4: D86C4580 4E000007
	ds_read_b32 v79, v7 offset:17856                           // 00000000EACC: D86C45C0 4F000007
	s_waitcnt lgkmcnt(0)                                       // 00000000EAD4: BF8CC07F
	v_mov_b32_e32 v39, 0                                       // 00000000EAD8: 7E4E0280
	v_add_f32_e32 v39, v64, v39                                // 00000000EADC: 024E4F40
	v_add_f32_e32 v39, v65, v39                                // 00000000EAE0: 024E4F41
	v_add_f32_e32 v39, v66, v39                                // 00000000EAE4: 024E4F42
	v_add_f32_e32 v39, v67, v39                                // 00000000EAE8: 024E4F43
	v_add_f32_e32 v39, v68, v39                                // 00000000EAEC: 024E4F44
	v_add_f32_e32 v39, v69, v39                                // 00000000EAF0: 024E4F45
	v_add_f32_e32 v39, v70, v39                                // 00000000EAF4: 024E4F46
	v_add_f32_e32 v39, v71, v39                                // 00000000EAF8: 024E4F47
	v_add_f32_e32 v39, v72, v39                                // 00000000EAFC: 024E4F48
	v_add_f32_e32 v39, v73, v39                                // 00000000EB00: 024E4F49
	v_add_f32_e32 v39, v74, v39                                // 00000000EB04: 024E4F4A
	v_add_f32_e32 v39, v75, v39                                // 00000000EB08: 024E4F4B
	v_add_f32_e32 v39, v76, v39                                // 00000000EB0C: 024E4F4C
	v_add_f32_e32 v39, v77, v39                                // 00000000EB10: 024E4F4D
	v_add_f32_e32 v39, v78, v39                                // 00000000EB14: 024E4F4E
	v_add_f32_e32 v39, v79, v39                                // 00000000EB18: 024E4F4F
	s_nop 1                                                    // 00000000EB1C: BF800001
	v_rcp_f32_e32 v39, v39                                     // 00000000EB20: 7E4E4527
	s_nop 1                                                    // 00000000EB24: BF800001
	v_mul_f32_e32 v216, v39, v216                              // 00000000EB28: 0BB1B127
	v_mul_f32_e32 v217, v39, v217                              // 00000000EB2C: 0BB3B327
	v_mul_f32_e32 v218, v39, v218                              // 00000000EB30: 0BB5B527
	v_mul_f32_e32 v219, v39, v219                              // 00000000EB34: 0BB7B727
	v_mul_f32_e32 v220, v39, v220                              // 00000000EB38: 0BB9B927
	v_mul_f32_e32 v221, v39, v221                              // 00000000EB3C: 0BBBBB27
	v_mul_f32_e32 v222, v39, v222                              // 00000000EB40: 0BBDBD27
	v_mul_f32_e32 v223, v39, v223                              // 00000000EB44: 0BBFBF27
	v_mov_b32_e32 v19, 0xffff0000                              // 00000000EB48: 7E2602FF FFFF0000
	v_mov_b32_e32 v20, 0x7fff0000                              // 00000000EB50: 7E2802FF 7FFF0000
	v_mov_b32_e32 v21, 0x7fff                                  // 00000000EB58: 7E2A02FF 00007FFF
	v_cvt_pkrtz_f16_f32 v64, v216, v217                        // 00000000EB60: D2960040 0003B3D8
	v_mov_b32_e32 v216, v64                                    // 00000000EB68: 7FB00340
	v_cvt_pkrtz_f16_f32 v64, v218, v219                        // 00000000EB6C: D2960040 0003B7DA
	v_mov_b32_e32 v217, v64                                    // 00000000EB74: 7FB20340
	v_cvt_pkrtz_f16_f32 v64, v220, v221                        // 00000000EB78: D2960040 0003BBDC
	v_mov_b32_e32 v218, v64                                    // 00000000EB80: 7FB40340
	v_cvt_pkrtz_f16_f32 v64, v222, v223                        // 00000000EB84: D2960040 0003BFDE
	v_mov_b32_e32 v219, v64                                    // 00000000EB8C: 7FB60340
	s_nop 1                                                    // 00000000EB90: BF800001
	v_lshrrev_b32_e32 v64, 4, v0                               // 00000000EB94: 20800084
	v_mul_i32_i24_e32 v68, 34, v64                             // 00000000EB98: 0C8880A2
	v_and_b32_e32 v64, 15, v0                                  // 00000000EB9C: 2680008F
	v_mul_i32_i24_e32 v65, 2, v64                              // 00000000EBA0: 0C828082
	v_add_u32_e32 v68, v65, v68                                // 00000000EBA4: 68888941
	s_mul_i32 s60, s7, 0x88                                    // 00000000EBA8: 923CFF07 00000088
	v_add_u32_e32 v68, s60, v68                                // 00000000EBB0: 6888883C
	v_lshlrev_b32_e32 v68, 2, v68                              // 00000000EBB4: 24888882
	ds_write_b64 v68, v[216:217] offset:41472                  // 00000000EBB8: D89AA200 0000D844
	ds_write_b64 v68, v[218:219] offset:43648                  // 00000000EBC0: D89AAA80 0000DA44
	v_lshrrev_b32_e32 v64, 1, v0                               // 00000000EBC8: 20800081
	v_mul_i32_i24_e32 v68, 34, v64                             // 00000000EBCC: 0C8880A2
	v_and_b32_e32 v65, 1, v0                                   // 00000000EBD0: 26820081
	v_add_u32_e32 v68, v65, v68                                // 00000000EBD4: 68888941
	s_mul_i32 s60, s7, 2                                       // 00000000EBD8: 923C8207
	v_add_u32_e32 v68, s60, v68                                // 00000000EBDC: 6888883C
	v_lshlrev_b32_e32 v68, 2, v68                              // 00000000EBE0: 24888882
	s_waitcnt lgkmcnt(0)                                       // 00000000EBE4: BF8CC07F
	s_barrier                                                  // 00000000EBE8: BF8A0000
	ds_read_b32 v216, v68 offset:41472                         // 00000000EBEC: D86CA200 D8000044
	ds_read_b32 v217, v68 offset:41504                         // 00000000EBF4: D86CA220 D9000044
	ds_read_b32 v218, v68 offset:41536                         // 00000000EBFC: D86CA240 DA000044
	ds_read_b32 v219, v68 offset:41568                         // 00000000EC04: D86CA260 DB000044
	s_mul_i32 s60, s7, 0x100                                   // 00000000EC0C: 923CFF07 00000100
	v_lshlrev_b32_e32 v64, 2, v0                               // 00000000EC14: 24800082
	v_add_u32_e64 v64, v64, s60                                // 00000000EC18: D1340040 00007940
	s_waitcnt lgkmcnt(0)                                       // 00000000EC20: BF8CC07F
	buffer_store_dword v216, v64, s[8:11], 0 offen             // 00000000EC24: E0701000 8002D840
	buffer_store_dword v217, v64, s[8:11], 0 offen offset:1024 // 00000000EC2C: E0701400 8002D940
	buffer_store_dword v218, v64, s[8:11], 0 offen offset:2048 // 00000000EC34: E0701800 8002DA40
	buffer_store_dword v219, v64, s[8:11], 0 offen offset:3072 // 00000000EC3C: E0701C00 8002DB40
	s_add_u32 s8, s75, s8                                      // 00000000EC44: 8008084B
	s_addc_u32 s9, 0, s9                                       // 00000000EC48: 82090980

000000000000ec4c <label_3293>:
	s_branch label_6228                                        // 00000000EC4C: BF822F94

000000000000ec50 <label_3294>:
	s_mul_i32 s60, s3, s65                                     // 00000000EC50: 923C4103
	s_mul_i32 s60, s60, 4                                      // 00000000EC54: 923C843C
	s_add_u32 s24, s60, s24                                    // 00000000EC58: 8018183C
	s_addc_u32 s25, 0, s25                                     // 00000000EC5C: 82191980
	s_mov_b32 s56, 64                                          // 00000000EC60: BEB800C0
	s_add_u32 s73, s72, 15                                     // 00000000EC64: 80498F48
	s_lshr_b32 s73, s73, 4                                     // 00000000EC68: 8F498449
	s_mul_i32 s60, s73, 4                                      // 00000000EC6C: 923C8449
	s_mov_b32 s26, s60                                         // 00000000EC70: BE9A003C
	v_and_b32_e32 v65, 3, v0                                   // 00000000EC74: 26820083
	v_cmp_eq_u32_e64 s[60:61], 0, v65                          // 00000000EC78: D0CA003C 00028280
	v_and_b32_e32 v64, 12, v0                                  // 00000000EC80: 2680008C
	v_add_u32_e32 v1, s7, v64                                  // 00000000EC84: 68028007
	v_cndmask_b32_e64 v1, 0, v1, s[60:61]                      // 00000000EC88: D1000001 00F20280
	v_and_b32_e32 v65, 3, v0                                   // 00000000EC90: 26820083
	v_cmp_eq_u32_e64 s[60:61], 1, v65                          // 00000000EC94: D0CA003C 00028281
	v_lshrrev_b32_e32 v64, 4, v0                               // 00000000EC9C: 20800084
	v_and_b32_e32 v65, 12, v0                                  // 00000000ECA0: 2682008C
	v_add_u32_e32 v64, v65, v64                                // 00000000ECA4: 68808141
	v_cndmask_b32_e64 v64, 0, v64, s[60:61]                    // 00000000ECA8: D1000040 00F28080
	v_add_u32_e32 v1, v1, v64                                  // 00000000ECB0: 68028101
	v_lshlrev_b32_e32 v1, 2, v1                                // 00000000ECB4: 24020282
	buffer_load_dword v16, v1, s[24:27], 0 offen               // 00000000ECB8: E0501000 80061001
	v_add_u32_e32 v1, s56, v1                                  // 00000000ECC0: 68020238
	buffer_load_dword v17, v1, s[24:27], 0 offen               // 00000000ECC4: E0501000 80061101
	s_cmp_le_u32 s73, 32                                       // 00000000ECCC: BF0BA049
	s_cselect_b32 s56, 0, s56                                  // 00000000ECD0: 85383880
	s_mul_i32 s60, s2, s67                                     // 00000000ECD4: 923C4302
	s_mul_i32 s61, s84, s74                                    // 00000000ECD8: 923D4A54
	s_add_u32 s60, s60, s61                                    // 00000000ECDC: 803C3D3C
	s_add_u32 s12, s60, s12                                    // 00000000ECE0: 800C0C3C
	s_addc_u32 s13, 0, s13                                     // 00000000ECE4: 820D0D80
	s_mul_i32 s60, s7, 0x108                                   // 00000000ECE8: 923CFF07 00000108
	s_add_u32 m0, 0, s60                                       // 00000000ECF0: 807C3C80
	s_mul_i32 s60, s7, 0x100                                   // 00000000ECF4: 923CFF07 00000100
	v_lshlrev_b32_e32 v64, 2, v0                               // 00000000ECFC: 24800082
	v_add_u32_e64 v64, v64, s60                                // 00000000ED00: D1340040 00007940
	v_add_u32_e32 v65, 0x400, v64                              // 00000000ED08: 688280FF 00000400
	v_add_u32_e32 v66, 0x800, v64                              // 00000000ED10: 688480FF 00000800
	v_add_u32_e32 v67, 0xc00, v64                              // 00000000ED18: 688680FF 00000C00
	buffer_load_dword v64, s[12:15], 0 offen lds               // 00000000ED20: E0511000 80030040
	s_mul_i32 s60, 4, 0x108                                    // 00000000ED28: 923CFF84 00000108
	s_add_u32 m0, m0, s60                                      // 00000000ED30: 807C3C7C
	buffer_load_dword v65, s[12:15], 0 offen lds               // 00000000ED34: E0511000 80030041
	s_mul_i32 s60, 4, 0x108                                    // 00000000ED3C: 923CFF84 00000108
	s_add_u32 m0, m0, s60                                      // 00000000ED44: 807C3C7C
	buffer_load_dword v66, s[12:15], 0 offen lds               // 00000000ED48: E0511000 80030042
	s_mul_i32 s60, 4, 0x108                                    // 00000000ED50: 923CFF84 00000108
	s_add_u32 m0, m0, s60                                      // 00000000ED58: 807C3C7C
	buffer_load_dword v67, s[12:15], 0 offen lds               // 00000000ED5C: E0511000 80030043
	s_mul_i32 s60, 4, 0x108                                    // 00000000ED64: 923CFF84 00000108
	s_add_u32 m0, m0, s60                                      // 00000000ED6C: 807C3C7C
	s_add_u32 s12, s74, s12                                    // 00000000ED70: 800C0C4A
	s_addc_u32 s13, 0, s13                                     // 00000000ED74: 820D0D80
	buffer_load_dword v64, s[12:15], 0 offen lds               // 00000000ED78: E0511000 80030040
	s_mul_i32 s60, 4, 0x108                                    // 00000000ED80: 923CFF84 00000108
	s_add_u32 m0, m0, s60                                      // 00000000ED88: 807C3C7C
	buffer_load_dword v65, s[12:15], 0 offen lds               // 00000000ED8C: E0511000 80030041
	s_mul_i32 s60, 4, 0x108                                    // 00000000ED94: 923CFF84 00000108
	s_add_u32 m0, m0, s60                                      // 00000000ED9C: 807C3C7C
	buffer_load_dword v66, s[12:15], 0 offen lds               // 00000000EDA0: E0511000 80030042
	s_mul_i32 s60, 4, 0x108                                    // 00000000EDA8: 923CFF84 00000108
	s_add_u32 m0, m0, s60                                      // 00000000EDB0: 807C3C7C
	buffer_load_dword v67, s[12:15], 0 offen lds               // 00000000EDB4: E0511000 80030043
	s_mul_i32 s60, 4, 0x108                                    // 00000000EDBC: 923CFF84 00000108
	s_add_u32 m0, m0, s60                                      // 00000000EDC4: 807C3C7C
	s_add_u32 s12, s74, s12                                    // 00000000EDC8: 800C0C4A
	s_addc_u32 s13, 0, s13                                     // 00000000EDCC: 820D0D80
	buffer_load_dword v64, s[12:15], 0 offen lds               // 00000000EDD0: E0511000 80030040
	s_mul_i32 s60, 4, 0x108                                    // 00000000EDD8: 923CFF84 00000108
	s_add_u32 m0, m0, s60                                      // 00000000EDE0: 807C3C7C
	buffer_load_dword v65, s[12:15], 0 offen lds               // 00000000EDE4: E0511000 80030041
	s_mul_i32 s60, 4, 0x108                                    // 00000000EDEC: 923CFF84 00000108
	s_add_u32 m0, m0, s60                                      // 00000000EDF4: 807C3C7C
	buffer_load_dword v66, s[12:15], 0 offen lds               // 00000000EDF8: E0511000 80030042
	s_mul_i32 s60, 4, 0x108                                    // 00000000EE00: 923CFF84 00000108
	s_add_u32 m0, m0, s60                                      // 00000000EE08: 807C3C7C
	buffer_load_dword v67, s[12:15], 0 offen lds               // 00000000EE0C: E0511000 80030043
	s_mul_i32 s60, 4, 0x108                                    // 00000000EE14: 923CFF84 00000108
	s_add_u32 m0, m0, s60                                      // 00000000EE1C: 807C3C7C
	s_add_u32 s12, s74, s12                                    // 00000000EE20: 800C0C4A
	s_addc_u32 s13, 0, s13                                     // 00000000EE24: 820D0D80
	v_lshrrev_b32_e32 v64, 4, v0                               // 00000000EE28: 20800084
	v_lshlrev_b32_e32 v64, 2, v64                              // 00000000EE2C: 24808082
	v_and_b32_e32 v65, 3, v0                                   // 00000000EE30: 26820083
	v_add_u32_e32 v64, v65, v64                                // 00000000EE34: 68808141
	v_lshlrev_b32_e32 v59, 2, v64                              // 00000000EE38: 24768082
	v_mov_b32_e32 v60, v59                                     // 00000000EE3C: 7E78033B
	s_mul_i32 s60, s2, 64                                      // 00000000EE40: 923CC002
	s_add_u32 s32, s60, s32                                    // 00000000EE44: 8020203C
	s_addc_u32 s33, 0, s33                                     // 00000000EE48: 82212180
	s_add_u32 s36, s60, s36                                    // 00000000EE4C: 8024243C
	s_addc_u32 s37, 0, s37                                     // 00000000EE50: 82252580
	s_mul_i32 s60, s2, s76                                     // 00000000EE54: 923C4C02
	s_mul_i32 s61, s84, s75                                    // 00000000EE58: 923D4B54
	s_add_u32 s60, s60, s61                                    // 00000000EE5C: 803C3D3C
	s_add_u32 s8, s60, s8                                      // 00000000EE60: 8008083C
	s_addc_u32 s9, 0, s9                                       // 00000000EE64: 82090980
	s_mov_b32 s70, 0                                           // 00000000EE68: BEC60080
	s_and_b32 s71, s72, 0xffffff00                             // 00000000EE6C: 8647FF48 FFFFFF00
	s_mov_b32 s42, 0xff00ff00                                  // 00000000EE74: BEAA00FF FF00FF00
	s_mov_b32 s43, 0xff00ff00                                  // 00000000EE7C: BEAB00FF FF00FF00
	s_mov_b32 s44, 0xf0f0f0f0                                  // 00000000EE84: BEAC00FF F0F0F0F0
	s_mov_b32 s45, 0xf0f0f0f0                                  // 00000000EE8C: BEAD00FF F0F0F0F0
	s_mov_b32 s78, 0xff00ff                                    // 00000000EE94: BECE00FF 00FF00FF
	s_mov_b32 s79, 0xff00ff                                    // 00000000EE9C: BECF00FF 00FF00FF
	v_mul_i32_i24_e64 v63, 64, s66                             // 00000000EEA4: D106003F 000084C0
	v_mov_b32_e32 v54, s68                                     // 00000000EEAC: 7E6C0244
	s_mov_b32 s52, 0x7060302                                   // 00000000EEB0: BEB400FF 07060302
	s_mov_b32 s53, 0x400                                       // 00000000EEB8: BEB500FF 00000400
	s_mov_b32 s54, 0x40100                                     // 00000000EEC0: BEB600FF 00040100
	s_mov_b32 s55, 0x4020100                                   // 00000000EEC8: BEB700FF 04020100
	s_mov_b32 s6, 0x3fb8aa3b                                   // 00000000EED0: BE8600FF 3FB8AA3B
	v_mov_b32_e32 v11, 0xff800000                              // 00000000EED8: 7E1602FF FF800000
	v_mov_b32_e32 v12, 0xff800000                              // 00000000EEE0: 7E1802FF FF800000
	v_mov_b32_e32 v49, 0                                       // 00000000EEE8: 7E620280
	v_mov_b32_e32 v50, 0                                       // 00000000EEEC: 7E640280
	v_mov_b32_e32 v51, 0                                       // 00000000EEF0: 7E660280
	v_mov_b32_e32 v38, 0                                       // 00000000EEF4: 7E4C0280
	v_mov_b32_e32 v39, 0                                       // 00000000EEF8: 7E4E0280
	v_mov_b32_e32 v40, 0                                       // 00000000EEFC: 7E500280
	v_mov_b32_e32 v44, 0                                       // 00000000EF00: 7E580280
	v_mov_b32_e32 v45, 0                                       // 00000000EF04: 7E5A0280
	v_mov_b32_e32 v46, 0                                       // 00000000EF08: 7E5C0280
	v_add_u32_e32 v1, s56, v1                                  // 00000000EF0C: 68020238
	v_and_b32_e32 v7, 15, v0                                   // 00000000EF10: 260E008F
	v_lshlrev_b32_e32 v7, 2, v7                                // 00000000EF14: 240E0E82
	v_lshlrev_b32_e32 v8, 2, v0                                // 00000000EF18: 24100082
	s_mul_i32 s60, 0x100, s7                                   // 00000000EF1C: 923C07FF 00000100
	v_add_u32_e32 v8, s60, v8                                  // 00000000EF24: 6810103C
	v_lshrrev_b32_e32 v64, 4, v0                               // 00000000EF28: 20800084
	v_lshlrev_b32_e32 v65, 6, v64                              // 00000000EF2C: 24828086
	v_and_b32_e32 v64, 15, v0                                  // 00000000EF30: 2680008F
	v_lshlrev_b32_e32 v64, 1, v64                              // 00000000EF34: 24808081
	v_add_u32_e32 v65, v64, v65                                // 00000000EF38: 68828340
	v_lshlrev_b32_e32 v9, 2, v65                               // 00000000EF3C: 24128282
	v_lshrrev_b32_e32 v64, 5, v0                               // 00000000EF40: 20800085
	v_lshlrev_b32_e32 v65, 5, v64                              // 00000000EF44: 24828085
	v_and_b32_e32 v64, 31, v0                                  // 00000000EF48: 2680009F
	v_lshrrev_b32_e32 v66, 4, v64                              // 00000000EF4C: 20848084
	v_add_u32_e32 v65, v66, v65                                // 00000000EF50: 68828342
	v_and_b32_e32 v64, 15, v0                                  // 00000000EF54: 2680008F
	v_lshlrev_b32_e32 v64, 1, v64                              // 00000000EF58: 24808081
	v_add_u32_e32 v65, v64, v65                                // 00000000EF5C: 68828340
	v_lshlrev_b32_e32 v64, 2, v65                              // 00000000EF60: 24808282
	s_mul_i32 s60, 0x100, s7                                   // 00000000EF64: 923C07FF 00000100
	v_add_u32_e64 v10, v64, s60                                // 00000000EF6C: D134000A 00007940
	v_lshlrev_b32_e32 v5, 4, v0                                // 00000000EF74: 240A0084
	s_mul_i32 s60, s2, s69                                     // 00000000EF78: 923C4502
	s_add_u32 s16, s60, s16                                    // 00000000EF7C: 8010103C
	s_addc_u32 s17, 0, s17                                     // 00000000EF80: 82111180
	v_and_b32_e32 v64, 15, v0                                  // 00000000EF84: 2680008F
	v_lshlrev_b32_e32 v6, 4, v64                               // 00000000EF88: 240C8084
	s_mul_i32 s61, s2, s69                                     // 00000000EF8C: 923D4502
	s_mul_i32 s60, s7, 0x100                                   // 00000000EF90: 923CFF07 00000100
	s_add_u32 s60, s60, s61                                    // 00000000EF98: 803C3D3C
	s_add_u32 s20, s60, s20                                    // 00000000EF9C: 8014143C
	s_addc_u32 s21, 0, s21                                     // 00000000EFA0: 82151580
	s_waitcnt vmcnt(4)                                         // 00000000EFA4: BF8C0F74
	v_mul_u32_u24_dpp v64, v16, v54 row_newbcast:0 row_mask:0xf bank_mask:0xf// 00000000EFA8: 10806CFA FF015010
	v_mul_u32_u24_dpp v65, v16, v54 row_newbcast:4 row_mask:0xf bank_mask:0xf// 00000000EFB0: 10826CFA FF015410
	v_mul_u32_u24_dpp v66, v16, v54 row_newbcast:8 row_mask:0xf bank_mask:0xf// 00000000EFB8: 10846CFA FF015810
	v_mul_u32_u24_dpp v67, v16, v54 row_newbcast:12 row_mask:0xf bank_mask:0xf// 00000000EFC0: 10866CFA FF015C10
	v_add_u32_e32 v22, v64, v5                                 // 00000000EFC8: 682C0B40
	v_add_u32_e32 v23, v65, v5                                 // 00000000EFCC: 682E0B41
	v_add_u32_e32 v24, v66, v5                                 // 00000000EFD0: 68300B42
	v_add_u32_e32 v25, v67, v5                                 // 00000000EFD4: 68320B43
	v_mul_u32_u24_dpp v64, v16, v54 row_newbcast:1 row_mask:0xf bank_mask:0xf// 00000000EFD8: 10806CFA FF015110
	v_mul_u32_u24_dpp v65, v16, v54 row_newbcast:5 row_mask:0xf bank_mask:0xf// 00000000EFE0: 10826CFA FF015510
	v_mul_u32_u24_dpp v66, v16, v54 row_newbcast:9 row_mask:0xf bank_mask:0xf// 00000000EFE8: 10846CFA FF015910
	v_mul_u32_u24_dpp v67, v16, v54 row_newbcast:13 row_mask:0xf bank_mask:0xf// 00000000EFF0: 10866CFA FF015D10
	v_add_u32_e32 v30, v64, v6                                 // 00000000EFF8: 683C0D40
	v_add_u32_e32 v31, v65, v6                                 // 00000000EFFC: 683E0D41
	v_add_u32_e32 v32, v66, v6                                 // 00000000F000: 68400D42
	v_add_u32_e32 v33, v67, v6                                 // 00000000F004: 68420D43
	v_mul_u32_u24_dpp v64, v16, v63 quad_perm:[0,0,0,0] row_mask:0xf bank_mask:0xf// 00000000F008: 10807EFA FF000010
	v_add_u32_e32 v2, v64, v59                                 // 00000000F010: 68047740
	v_mul_u32_u24_dpp v64, v16, v63 quad_perm:[0,0,0,0] row_mask:0xf bank_mask:0xf// 00000000F014: 10807EFA FF000010
	v_add_u32_e32 v55, v64, v60                                // 00000000F01C: 686E7940
	buffer_load_dword v42, v2, s[32:35], 0 offen               // 00000000F020: E0501000 80082A02
	buffer_load_dwordx4 a[0:3], v22, s[16:19], 0 offen         // 00000000F028: E05C1000 80840016
	buffer_load_dwordx4 a[4:7], v22, s[16:19], 0 offen offset:1024// 00000000F030: E05C1400 80840416
	buffer_load_dwordx4 a[8:11], v23, s[16:19], 0 offen        // 00000000F038: E05C1000 80840817
	buffer_load_dwordx4 a[12:15], v23, s[16:19], 0 offen offset:1024// 00000000F040: E05C1400 80840C17
	buffer_load_dwordx4 a[16:19], v24, s[16:19], 0 offen       // 00000000F048: E05C1000 80841018
	buffer_load_dwordx4 a[20:23], v24, s[16:19], 0 offen offset:1024// 00000000F050: E05C1400 80841418
	buffer_load_dwordx4 a[24:27], v25, s[16:19], 0 offen       // 00000000F058: E05C1000 80841819
	buffer_load_dwordx4 a[28:31], v25, s[16:19], 0 offen offset:1024// 00000000F060: E05C1400 80841C19
	buffer_load_dword v57, v55, s[36:39], 0 offen              // 00000000F068: E0501000 80093937
	buffer_load_dwordx4 a[64:67], v30, s[20:23], 0 offen       // 00000000F070: E05C1000 8085401E
	buffer_load_dwordx4 a[68:71], v31, s[20:23], 0 offen       // 00000000F078: E05C1000 8085441F
	buffer_load_dwordx4 a[72:75], v32, s[20:23], 0 offen       // 00000000F080: E05C1000 80854820
	buffer_load_dwordx4 a[76:79], v33, s[20:23], 0 offen       // 00000000F088: E05C1000 80854C21
	buffer_load_dwordx4 a[80:83], v30, s[20:23], 0 offen offset:1024// 00000000F090: E05C1400 8085501E
	buffer_load_dwordx4 a[84:87], v31, s[20:23], 0 offen offset:1024// 00000000F098: E05C1400 8085541F
	buffer_load_dwordx4 a[88:91], v32, s[20:23], 0 offen offset:1024// 00000000F0A0: E05C1400 80855820
	buffer_load_dwordx4 a[92:95], v33, s[20:23], 0 offen offset:1024// 00000000F0A8: E05C1400 80855C21
	v_lshrrev_b32_e32 v64, 4, v0                               // 00000000F0B0: 20800084
	v_lshlrev_b32_e32 v65, 1, v64                              // 00000000F0B4: 24828081
	v_and_b32_e32 v64, 15, v0                                  // 00000000F0B8: 2680008F
	v_mul_i32_i24_e32 v64, 0x42, v64                           // 00000000F0BC: 0C8080FF 00000042
	v_add_u32_e32 v65, v64, v65                                // 00000000F0C4: 68828340
	v_lshlrev_b32_e32 v4, 2, v65                               // 00000000F0C8: 24088282
	s_mul_i32 s60, s7, 32                                      // 00000000F0CC: 923CA007
	v_add_u32_e32 v4, s60, v4                                  // 00000000F0D0: 6808083C
	s_waitcnt vmcnt(16) lgkmcnt(0)                             // 00000000F0D4: BF8C4070
	s_barrier                                                  // 00000000F0D8: BF8A0000
	ds_read_b64 v[80:81], v4                                   // 00000000F0DC: D8EC0000 50000004
	ds_read_b64 v[84:85], v4 offset:128                        // 00000000F0E4: D8EC0080 54000004
	s_waitcnt lgkmcnt(0)                                       // 00000000F0EC: BF8CC07F
	v_and_b32_e32 v64, 0xffff, v80                             // 00000000F0F0: 2680A0FF 0000FFFF
	v_lshrrev_b32_e32 v65, 16, v80                             // 00000000F0F8: 2082A090
	v_and_b32_e32 v66, 0xffff, v81                             // 00000000F0FC: 2684A2FF 0000FFFF
	v_lshrrev_b32_e32 v67, 16, v81                             // 00000000F104: 2086A290
	v_cvt_f32_f16_e32 v80, v64                                 // 00000000F108: 7EA01740
	v_cvt_f32_f16_e32 v81, v65                                 // 00000000F10C: 7EA21741
	v_cvt_f32_f16_e32 v82, v66                                 // 00000000F110: 7EA41742
	v_cvt_f32_f16_e32 v83, v67                                 // 00000000F114: 7EA61743
	v_and_b32_e32 v64, 0xffff, v84                             // 00000000F118: 2680A8FF 0000FFFF
	v_lshrrev_b32_e32 v65, 16, v84                             // 00000000F120: 2082A890
	v_and_b32_e32 v66, 0xffff, v85                             // 00000000F124: 2684AAFF 0000FFFF
	v_lshrrev_b32_e32 v67, 16, v85                             // 00000000F12C: 2086AA90
	v_cvt_f32_f16_e32 v84, v64                                 // 00000000F130: 7EA81740
	v_cvt_f32_f16_e32 v85, v65                                 // 00000000F134: 7EAA1741
	v_cvt_f32_f16_e32 v86, v66                                 // 00000000F138: 7EAC1742
	v_cvt_f32_f16_e32 v87, v67                                 // 00000000F13C: 7EAE1743
	v_mov_b32_e32 v48, 0x358637bd                              // 00000000F140: 7E6002FF 358637BD
	v_max3_f32 v48, |v80|, |v81|, v48                          // 00000000F148: D1D30330 04C2A350
	v_max3_f32 v48, |v82|, |v83|, v48                          // 00000000F150: D1D30330 04C2A752
	v_max3_f32 v48, |v84|, |v85|, v48                          // 00000000F158: D1D30330 04C2AB54
	v_max3_f32 v48, |v86|, |v87|, v48                          // 00000000F160: D1D30330 04C2AF56
	ds_write_b32 v8, v48 offset:16896                          // 00000000F168: D81A4200 00003008
	s_waitcnt lgkmcnt(0)                                       // 00000000F170: BF8CC07F
	s_barrier                                                  // 00000000F174: BF8A0000
	ds_read_b32 v64, v7 offset:16896                           // 00000000F178: D86C4200 40000007
	ds_read_b32 v65, v7 offset:16960                           // 00000000F180: D86C4240 41000007
	ds_read_b32 v66, v7 offset:17024                           // 00000000F188: D86C4280 42000007
	ds_read_b32 v67, v7 offset:17088                           // 00000000F190: D86C42C0 43000007
	ds_read_b32 v68, v7 offset:17152                           // 00000000F198: D86C4300 44000007
	ds_read_b32 v69, v7 offset:17216                           // 00000000F1A0: D86C4340 45000007
	ds_read_b32 v70, v7 offset:17280                           // 00000000F1A8: D86C4380 46000007
	ds_read_b32 v71, v7 offset:17344                           // 00000000F1B0: D86C43C0 47000007
	ds_read_b32 v72, v7 offset:17408                           // 00000000F1B8: D86C4400 48000007
	ds_read_b32 v73, v7 offset:17472                           // 00000000F1C0: D86C4440 49000007
	ds_read_b32 v74, v7 offset:17536                           // 00000000F1C8: D86C4480 4A000007
	ds_read_b32 v75, v7 offset:17600                           // 00000000F1D0: D86C44C0 4B000007
	ds_read_b32 v76, v7 offset:17664                           // 00000000F1D8: D86C4500 4C000007
	ds_read_b32 v77, v7 offset:17728                           // 00000000F1E0: D86C4540 4D000007
	ds_read_b32 v78, v7 offset:17792                           // 00000000F1E8: D86C4580 4E000007
	ds_read_b32 v79, v7 offset:17856                           // 00000000F1F0: D86C45C0 4F000007
	s_waitcnt lgkmcnt(0)                                       // 00000000F1F8: BF8CC07F
	v_max3_f32 v48, |v64|, |v65|, v48                          // 00000000F1FC: D1D30330 04C28340
	v_max3_f32 v48, |v66|, |v67|, v48                          // 00000000F204: D1D30330 04C28742
	v_max3_f32 v48, |v68|, |v69|, v48                          // 00000000F20C: D1D30330 04C28B44
	v_max3_f32 v48, |v70|, |v71|, v48                          // 00000000F214: D1D30330 04C28F46
	v_max3_f32 v48, |v72|, |v73|, v48                          // 00000000F21C: D1D30330 04C29348
	v_max3_f32 v48, |v74|, |v75|, v48                          // 00000000F224: D1D30330 04C2974A
	v_max3_f32 v48, |v76|, |v77|, v48                          // 00000000F22C: D1D30330 04C29B4C
	v_max3_f32 v48, |v78|, |v79|, v48                          // 00000000F234: D1D30330 04C29F4E
	v_rcp_f32_e32 v48, v48                                     // 00000000F23C: 7E604530
	s_nop 1                                                    // 00000000F240: BF800001
	v_mul_f32_e32 v48, 0x42fe0000, v48                         // 00000000F244: 0A6060FF 42FE0000
	v_mul_f32_e32 v80, v48, v80                                // 00000000F24C: 0AA0A130
	v_mul_f32_e32 v81, v48, v81                                // 00000000F250: 0AA2A330
	v_mul_f32_e32 v82, v48, v82                                // 00000000F254: 0AA4A530
	v_mul_f32_e32 v83, v48, v83                                // 00000000F258: 0AA6A730
	v_mul_f32_e32 v84, v48, v84                                // 00000000F25C: 0AA8A930
	v_mul_f32_e32 v85, v48, v85                                // 00000000F260: 0AAAAB30
	v_mul_f32_e32 v86, v48, v86                                // 00000000F264: 0AACAD30
	v_mul_f32_e32 v87, v48, v87                                // 00000000F268: 0AAEAF30
	v_cvt_i32_f32_e32 v80, v80                                 // 00000000F26C: 7EA01150
	v_cvt_i32_f32_e32 v81, v81                                 // 00000000F270: 7EA21151
	v_cvt_i32_f32_e32 v82, v82                                 // 00000000F274: 7EA41152
	v_cvt_i32_f32_e32 v83, v83                                 // 00000000F278: 7EA61153
	v_cvt_i32_f32_e32 v84, v84                                 // 00000000F27C: 7EA81154
	v_cvt_i32_f32_e32 v85, v85                                 // 00000000F280: 7EAA1155
	v_cvt_i32_f32_e32 v86, v86                                 // 00000000F284: 7EAC1156
	v_cvt_i32_f32_e32 v87, v87                                 // 00000000F288: 7EAE1157
	v_rcp_f32_e32 v18, v48                                     // 00000000F28C: 7E244530
	v_perm_b32 v80, v81, v80, s53                              // 00000000F290: D1ED0050 00D6A151
	v_perm_b32 v80, v82, v80, s54                              // 00000000F298: D1ED0050 00DAA152
	v_perm_b32 v80, v83, v80, s55                              // 00000000F2A0: D1ED0050 00DEA153
	v_perm_b32 v81, v85, v84, s53                              // 00000000F2A8: D1ED0051 00D6A955
	v_perm_b32 v81, v86, v81, s54                              // 00000000F2B0: D1ED0051 00DAA356
	v_perm_b32 v81, v87, v81, s55                              // 00000000F2B8: D1ED0051 00DEA357
	ds_write_b32 v10, v80 offset:25088                         // 00000000F2C0: D81A6200 0000500A
	ds_write_b32 v10, v81 offset:26112                         // 00000000F2C8: D81A6600 0000510A
	s_waitcnt lgkmcnt(0)                                       // 00000000F2D0: BF8CC07F
	s_barrier                                                  // 00000000F2D4: BF8A0000
	ds_read_b64 v[80:81], v9 offset:25088                      // 00000000F2D8: D8EC6200 50000009
	ds_read_b64 v[82:83], v9 offset:25216                      // 00000000F2E0: D8EC6280 52000009
	ds_read_b64 v[84:85], v9 offset:26112                      // 00000000F2E8: D8EC6600 54000009
	ds_read_b64 v[86:87], v9 offset:26240                      // 00000000F2F0: D8EC6680 56000009
	v_mov_b32_e32 v208, 0                                      // 00000000F2F8: 7FA00280
	v_mov_b32_e32 v209, 0                                      // 00000000F2FC: 7FA20280
	v_mov_b32_e32 v210, 0                                      // 00000000F300: 7FA40280
	v_mov_b32_e32 v211, 0                                      // 00000000F304: 7FA60280
	v_mov_b32_e32 v212, 0                                      // 00000000F308: 7FA80280
	v_mov_b32_e32 v213, 0                                      // 00000000F30C: 7FAA0280
	v_mov_b32_e32 v214, 0                                      // 00000000F310: 7FAC0280
	v_mov_b32_e32 v215, 0                                      // 00000000F314: 7FAE0280
	v_mov_b32_e32 v176, 0                                      // 00000000F318: 7F600280
	v_mov_b32_e32 v177, 0                                      // 00000000F31C: 7F620280
	v_mov_b32_e32 v178, 0                                      // 00000000F320: 7F640280
	v_mov_b32_e32 v179, 0                                      // 00000000F324: 7F660280
	v_mov_b32_e32 v180, 0                                      // 00000000F328: 7F680280
	v_mov_b32_e32 v181, 0                                      // 00000000F32C: 7F6A0280
	v_mov_b32_e32 v182, 0                                      // 00000000F330: 7F6C0280
	v_mov_b32_e32 v183, 0                                      // 00000000F334: 7F6E0280
	ds_read_b64 v[88:89], v4 offset:4224                       // 00000000F338: D8EC1080 58000004
	ds_read_b64 v[92:93], v4 offset:4352                       // 00000000F340: D8EC1100 5C000004
	s_waitcnt lgkmcnt(0)                                       // 00000000F348: BF8CC07F
	v_and_b32_e32 v64, 0xffff, v88                             // 00000000F34C: 2680B0FF 0000FFFF
	v_lshrrev_b32_e32 v65, 16, v88                             // 00000000F354: 2082B090
	v_and_b32_e32 v66, 0xffff, v89                             // 00000000F358: 2684B2FF 0000FFFF
	v_lshrrev_b32_e32 v67, 16, v89                             // 00000000F360: 2086B290
	v_cvt_f32_f16_e32 v88, v64                                 // 00000000F364: 7EB01740
	v_cvt_f32_f16_e32 v89, v65                                 // 00000000F368: 7EB21741
	v_cvt_f32_f16_e32 v90, v66                                 // 00000000F36C: 7EB41742
	v_cvt_f32_f16_e32 v91, v67                                 // 00000000F370: 7EB61743
	v_and_b32_e32 v64, 0xffff, v92                             // 00000000F374: 2680B8FF 0000FFFF
	v_lshrrev_b32_e32 v65, 16, v92                             // 00000000F37C: 2082B890
	v_and_b32_e32 v66, 0xffff, v93                             // 00000000F380: 2684BAFF 0000FFFF
	v_lshrrev_b32_e32 v67, 16, v93                             // 00000000F388: 2086BA90
	v_cvt_f32_f16_e32 v92, v64                                 // 00000000F38C: 7EB81740
	v_cvt_f32_f16_e32 v93, v65                                 // 00000000F390: 7EBA1741
	v_cvt_f32_f16_e32 v94, v66                                 // 00000000F394: 7EBC1742
	v_cvt_f32_f16_e32 v95, v67                                 // 00000000F398: 7EBE1743
	v_mov_b32_e32 v48, 0x358637bd                              // 00000000F39C: 7E6002FF 358637BD
	v_max3_f32 v48, |v88|, |v89|, v48                          // 00000000F3A4: D1D30330 04C2B358
	v_max3_f32 v48, |v90|, |v91|, v48                          // 00000000F3AC: D1D30330 04C2B75A
	v_max3_f32 v48, |v92|, |v93|, v48                          // 00000000F3B4: D1D30330 04C2BB5C
	v_max3_f32 v48, |v94|, |v95|, v48                          // 00000000F3BC: D1D30330 04C2BF5E
	ds_write_b32 v8, v48 offset:16896                          // 00000000F3C4: D81A4200 00003008
	s_waitcnt lgkmcnt(0)                                       // 00000000F3CC: BF8CC07F
	s_barrier                                                  // 00000000F3D0: BF8A0000
	ds_read_b32 v64, v7 offset:16896                           // 00000000F3D4: D86C4200 40000007
	ds_read_b32 v65, v7 offset:16960                           // 00000000F3DC: D86C4240 41000007
	ds_read_b32 v66, v7 offset:17024                           // 00000000F3E4: D86C4280 42000007
	ds_read_b32 v67, v7 offset:17088                           // 00000000F3EC: D86C42C0 43000007
	ds_read_b32 v68, v7 offset:17152                           // 00000000F3F4: D86C4300 44000007
	ds_read_b32 v69, v7 offset:17216                           // 00000000F3FC: D86C4340 45000007
	ds_read_b32 v70, v7 offset:17280                           // 00000000F404: D86C4380 46000007
	ds_read_b32 v71, v7 offset:17344                           // 00000000F40C: D86C43C0 47000007
	ds_read_b32 v72, v7 offset:17408                           // 00000000F414: D86C4400 48000007
	ds_read_b32 v73, v7 offset:17472                           // 00000000F41C: D86C4440 49000007
	ds_read_b32 v74, v7 offset:17536                           // 00000000F424: D86C4480 4A000007
	ds_read_b32 v75, v7 offset:17600                           // 00000000F42C: D86C44C0 4B000007
	ds_read_b32 v76, v7 offset:17664                           // 00000000F434: D86C4500 4C000007
	ds_read_b32 v77, v7 offset:17728                           // 00000000F43C: D86C4540 4D000007
	ds_read_b32 v78, v7 offset:17792                           // 00000000F444: D86C4580 4E000007
	ds_read_b32 v79, v7 offset:17856                           // 00000000F44C: D86C45C0 4F000007
	s_waitcnt lgkmcnt(0)                                       // 00000000F454: BF8CC07F
	v_max3_f32 v48, |v64|, |v65|, v48                          // 00000000F458: D1D30330 04C28340
	v_max3_f32 v48, |v66|, |v67|, v48                          // 00000000F460: D1D30330 04C28742
	v_max3_f32 v48, |v68|, |v69|, v48                          // 00000000F468: D1D30330 04C28B44
	v_max3_f32 v48, |v70|, |v71|, v48                          // 00000000F470: D1D30330 04C28F46
	v_max3_f32 v48, |v72|, |v73|, v48                          // 00000000F478: D1D30330 04C29348
	v_max3_f32 v48, |v74|, |v75|, v48                          // 00000000F480: D1D30330 04C2974A
	v_max3_f32 v48, |v76|, |v77|, v48                          // 00000000F488: D1D30330 04C29B4C
	v_max3_f32 v48, |v78|, |v79|, v48                          // 00000000F490: D1D30330 04C29F4E
	v_rcp_f32_e32 v48, v48                                     // 00000000F498: 7E604530
	s_nop 1                                                    // 00000000F49C: BF800001
	v_mul_f32_e32 v48, 0x42fe0000, v48                         // 00000000F4A0: 0A6060FF 42FE0000
	v_mul_f32_e32 v88, v48, v88                                // 00000000F4A8: 0AB0B130
	v_mul_f32_e32 v89, v48, v89                                // 00000000F4AC: 0AB2B330
	v_mul_f32_e32 v90, v48, v90                                // 00000000F4B0: 0AB4B530
	v_mul_f32_e32 v91, v48, v91                                // 00000000F4B4: 0AB6B730
	v_mul_f32_e32 v92, v48, v92                                // 00000000F4B8: 0AB8B930
	v_mul_f32_e32 v93, v48, v93                                // 00000000F4BC: 0ABABB30
	v_mul_f32_e32 v94, v48, v94                                // 00000000F4C0: 0ABCBD30
	v_mul_f32_e32 v95, v48, v95                                // 00000000F4C4: 0ABEBF30
	v_cvt_i32_f32_e32 v88, v88                                 // 00000000F4C8: 7EB01158
	v_cvt_i32_f32_e32 v89, v89                                 // 00000000F4CC: 7EB21159
	v_cvt_i32_f32_e32 v90, v90                                 // 00000000F4D0: 7EB4115A
	v_cvt_i32_f32_e32 v91, v91                                 // 00000000F4D4: 7EB6115B
	v_cvt_i32_f32_e32 v92, v92                                 // 00000000F4D8: 7EB8115C
	v_cvt_i32_f32_e32 v93, v93                                 // 00000000F4DC: 7EBA115D
	v_cvt_i32_f32_e32 v94, v94                                 // 00000000F4E0: 7EBC115E
	v_cvt_i32_f32_e32 v95, v95                                 // 00000000F4E4: 7EBE115F
	v_rcp_f32_e32 v19, v48                                     // 00000000F4E8: 7E264530
	v_perm_b32 v88, v89, v88, s53                              // 00000000F4EC: D1ED0058 00D6B159
	v_perm_b32 v88, v90, v88, s54                              // 00000000F4F4: D1ED0058 00DAB15A
	v_perm_b32 v88, v91, v88, s55                              // 00000000F4FC: D1ED0058 00DEB15B
	v_perm_b32 v89, v93, v92, s53                              // 00000000F504: D1ED0059 00D6B95D
	v_perm_b32 v89, v94, v89, s54                              // 00000000F50C: D1ED0059 00DAB35E
	v_perm_b32 v89, v95, v89, s55                              // 00000000F514: D1ED0059 00DEB35F
	ds_write_b32 v10, v88 offset:25088                         // 00000000F51C: D81A6200 0000580A
	ds_write_b32 v10, v89 offset:26112                         // 00000000F524: D81A6600 0000590A
	s_waitcnt lgkmcnt(0)                                       // 00000000F52C: BF8CC07F
	s_barrier                                                  // 00000000F530: BF8A0000
	ds_read_b64 v[88:89], v9 offset:25088                      // 00000000F534: D8EC6200 58000009
	ds_read_b64 v[90:91], v9 offset:25216                      // 00000000F53C: D8EC6280 5A000009
	ds_read_b64 v[92:93], v9 offset:26112                      // 00000000F544: D8EC6600 5C000009
	ds_read_b64 v[94:95], v9 offset:26240                      // 00000000F54C: D8EC6680 5E000009
	v_mov_b32_e32 v216, 0                                      // 00000000F554: 7FB00280
	v_mov_b32_e32 v217, 0                                      // 00000000F558: 7FB20280
	v_mov_b32_e32 v218, 0                                      // 00000000F55C: 7FB40280
	v_mov_b32_e32 v219, 0                                      // 00000000F560: 7FB60280
	v_mov_b32_e32 v220, 0                                      // 00000000F564: 7FB80280
	v_mov_b32_e32 v221, 0                                      // 00000000F568: 7FBA0280
	v_mov_b32_e32 v222, 0                                      // 00000000F56C: 7FBC0280
	v_mov_b32_e32 v223, 0                                      // 00000000F570: 7FBE0280
	v_mov_b32_e32 v184, 0                                      // 00000000F574: 7F700280
	v_mov_b32_e32 v185, 0                                      // 00000000F578: 7F720280
	v_mov_b32_e32 v186, 0                                      // 00000000F57C: 7F740280
	v_mov_b32_e32 v187, 0                                      // 00000000F580: 7F760280
	v_mov_b32_e32 v188, 0                                      // 00000000F584: 7F780280
	v_mov_b32_e32 v189, 0                                      // 00000000F588: 7F7A0280
	v_mov_b32_e32 v190, 0                                      // 00000000F58C: 7F7C0280
	v_mov_b32_e32 v191, 0                                      // 00000000F590: 7F7E0280
	ds_read_b64 v[96:97], v4 offset:8448                       // 00000000F594: D8EC2100 60000004
	ds_read_b64 v[100:101], v4 offset:8576                     // 00000000F59C: D8EC2180 64000004
	s_waitcnt lgkmcnt(0)                                       // 00000000F5A4: BF8CC07F
	v_and_b32_e32 v64, 0xffff, v96                             // 00000000F5A8: 2680C0FF 0000FFFF
	v_lshrrev_b32_e32 v65, 16, v96                             // 00000000F5B0: 2082C090
	v_and_b32_e32 v66, 0xffff, v97                             // 00000000F5B4: 2684C2FF 0000FFFF
	v_lshrrev_b32_e32 v67, 16, v97                             // 00000000F5BC: 2086C290
	v_cvt_f32_f16_e32 v96, v64                                 // 00000000F5C0: 7EC01740
	v_cvt_f32_f16_e32 v97, v65                                 // 00000000F5C4: 7EC21741
	v_cvt_f32_f16_e32 v98, v66                                 // 00000000F5C8: 7EC41742
	v_cvt_f32_f16_e32 v99, v67                                 // 00000000F5CC: 7EC61743
	v_and_b32_e32 v64, 0xffff, v100                            // 00000000F5D0: 2680C8FF 0000FFFF
	v_lshrrev_b32_e32 v65, 16, v100                            // 00000000F5D8: 2082C890
	v_and_b32_e32 v66, 0xffff, v101                            // 00000000F5DC: 2684CAFF 0000FFFF
	v_lshrrev_b32_e32 v67, 16, v101                            // 00000000F5E4: 2086CA90
	v_cvt_f32_f16_e32 v100, v64                                // 00000000F5E8: 7EC81740
	v_cvt_f32_f16_e32 v101, v65                                // 00000000F5EC: 7ECA1741
	v_cvt_f32_f16_e32 v102, v66                                // 00000000F5F0: 7ECC1742
	v_cvt_f32_f16_e32 v103, v67                                // 00000000F5F4: 7ECE1743
	v_mov_b32_e32 v48, 0x358637bd                              // 00000000F5F8: 7E6002FF 358637BD
	v_max3_f32 v48, |v96|, |v97|, v48                          // 00000000F600: D1D30330 04C2C360
	v_max3_f32 v48, |v98|, |v99|, v48                          // 00000000F608: D1D30330 04C2C762
	v_max3_f32 v48, |v100|, |v101|, v48                        // 00000000F610: D1D30330 04C2CB64
	v_max3_f32 v48, |v102|, |v103|, v48                        // 00000000F618: D1D30330 04C2CF66
	ds_write_b32 v8, v48 offset:16896                          // 00000000F620: D81A4200 00003008
	s_waitcnt lgkmcnt(0)                                       // 00000000F628: BF8CC07F
	s_barrier                                                  // 00000000F62C: BF8A0000
	ds_read_b32 v64, v7 offset:16896                           // 00000000F630: D86C4200 40000007
	ds_read_b32 v65, v7 offset:16960                           // 00000000F638: D86C4240 41000007
	ds_read_b32 v66, v7 offset:17024                           // 00000000F640: D86C4280 42000007
	ds_read_b32 v67, v7 offset:17088                           // 00000000F648: D86C42C0 43000007
	ds_read_b32 v68, v7 offset:17152                           // 00000000F650: D86C4300 44000007
	ds_read_b32 v69, v7 offset:17216                           // 00000000F658: D86C4340 45000007
	ds_read_b32 v70, v7 offset:17280                           // 00000000F660: D86C4380 46000007
	ds_read_b32 v71, v7 offset:17344                           // 00000000F668: D86C43C0 47000007
	ds_read_b32 v72, v7 offset:17408                           // 00000000F670: D86C4400 48000007
	ds_read_b32 v73, v7 offset:17472                           // 00000000F678: D86C4440 49000007
	ds_read_b32 v74, v7 offset:17536                           // 00000000F680: D86C4480 4A000007
	ds_read_b32 v75, v7 offset:17600                           // 00000000F688: D86C44C0 4B000007
	ds_read_b32 v76, v7 offset:17664                           // 00000000F690: D86C4500 4C000007
	ds_read_b32 v77, v7 offset:17728                           // 00000000F698: D86C4540 4D000007
	ds_read_b32 v78, v7 offset:17792                           // 00000000F6A0: D86C4580 4E000007
	ds_read_b32 v79, v7 offset:17856                           // 00000000F6A8: D86C45C0 4F000007
	s_waitcnt lgkmcnt(0)                                       // 00000000F6B0: BF8CC07F
	v_max3_f32 v48, |v64|, |v65|, v48                          // 00000000F6B4: D1D30330 04C28340
	v_max3_f32 v48, |v66|, |v67|, v48                          // 00000000F6BC: D1D30330 04C28742
	v_max3_f32 v48, |v68|, |v69|, v48                          // 00000000F6C4: D1D30330 04C28B44
	v_max3_f32 v48, |v70|, |v71|, v48                          // 00000000F6CC: D1D30330 04C28F46
	v_max3_f32 v48, |v72|, |v73|, v48                          // 00000000F6D4: D1D30330 04C29348
	v_max3_f32 v48, |v74|, |v75|, v48                          // 00000000F6DC: D1D30330 04C2974A
	v_max3_f32 v48, |v76|, |v77|, v48                          // 00000000F6E4: D1D30330 04C29B4C
	v_max3_f32 v48, |v78|, |v79|, v48                          // 00000000F6EC: D1D30330 04C29F4E
	v_rcp_f32_e32 v48, v48                                     // 00000000F6F4: 7E604530
	s_nop 1                                                    // 00000000F6F8: BF800001
	v_mul_f32_e32 v48, 0x42fe0000, v48                         // 00000000F6FC: 0A6060FF 42FE0000
	v_mul_f32_e32 v96, v48, v96                                // 00000000F704: 0AC0C130
	v_mul_f32_e32 v97, v48, v97                                // 00000000F708: 0AC2C330
	v_mul_f32_e32 v98, v48, v98                                // 00000000F70C: 0AC4C530
	v_mul_f32_e32 v99, v48, v99                                // 00000000F710: 0AC6C730
	v_mul_f32_e32 v100, v48, v100                              // 00000000F714: 0AC8C930
	v_mul_f32_e32 v101, v48, v101                              // 00000000F718: 0ACACB30
	v_mul_f32_e32 v102, v48, v102                              // 00000000F71C: 0ACCCD30
	v_mul_f32_e32 v103, v48, v103                              // 00000000F720: 0ACECF30
	v_cvt_i32_f32_e32 v96, v96                                 // 00000000F724: 7EC01160
	v_cvt_i32_f32_e32 v97, v97                                 // 00000000F728: 7EC21161
	v_cvt_i32_f32_e32 v98, v98                                 // 00000000F72C: 7EC41162
	v_cvt_i32_f32_e32 v99, v99                                 // 00000000F730: 7EC61163
	v_cvt_i32_f32_e32 v100, v100                               // 00000000F734: 7EC81164
	v_cvt_i32_f32_e32 v101, v101                               // 00000000F738: 7ECA1165
	v_cvt_i32_f32_e32 v102, v102                               // 00000000F73C: 7ECC1166
	v_cvt_i32_f32_e32 v103, v103                               // 00000000F740: 7ECE1167
	v_rcp_f32_e32 v20, v48                                     // 00000000F744: 7E284530
	v_perm_b32 v96, v97, v96, s53                              // 00000000F748: D1ED0060 00D6C161
	v_perm_b32 v96, v98, v96, s54                              // 00000000F750: D1ED0060 00DAC162
	v_perm_b32 v96, v99, v96, s55                              // 00000000F758: D1ED0060 00DEC163
	v_perm_b32 v97, v101, v100, s53                            // 00000000F760: D1ED0061 00D6C965
	v_perm_b32 v97, v102, v97, s54                             // 00000000F768: D1ED0061 00DAC366
	v_perm_b32 v97, v103, v97, s55                             // 00000000F770: D1ED0061 00DEC367
	ds_write_b32 v10, v96 offset:25088                         // 00000000F778: D81A6200 0000600A
	ds_write_b32 v10, v97 offset:26112                         // 00000000F780: D81A6600 0000610A
	s_waitcnt lgkmcnt(0)                                       // 00000000F788: BF8CC07F
	s_barrier                                                  // 00000000F78C: BF8A0000
	ds_read_b64 v[96:97], v9 offset:25088                      // 00000000F790: D8EC6200 60000009
	ds_read_b64 v[98:99], v9 offset:25216                      // 00000000F798: D8EC6280 62000009
	ds_read_b64 v[100:101], v9 offset:26112                    // 00000000F7A0: D8EC6600 64000009
	ds_read_b64 v[102:103], v9 offset:26240                    // 00000000F7A8: D8EC6680 66000009
	v_mov_b32_e32 v224, 0                                      // 00000000F7B0: 7FC00280
	v_mov_b32_e32 v225, 0                                      // 00000000F7B4: 7FC20280
	v_mov_b32_e32 v226, 0                                      // 00000000F7B8: 7FC40280
	v_mov_b32_e32 v227, 0                                      // 00000000F7BC: 7FC60280
	v_mov_b32_e32 v228, 0                                      // 00000000F7C0: 7FC80280
	v_mov_b32_e32 v229, 0                                      // 00000000F7C4: 7FCA0280
	v_mov_b32_e32 v230, 0                                      // 00000000F7C8: 7FCC0280
	v_mov_b32_e32 v231, 0                                      // 00000000F7CC: 7FCE0280
	v_mov_b32_e32 v192, 0                                      // 00000000F7D0: 7F800280
	v_mov_b32_e32 v193, 0                                      // 00000000F7D4: 7F820280
	v_mov_b32_e32 v194, 0                                      // 00000000F7D8: 7F840280
	v_mov_b32_e32 v195, 0                                      // 00000000F7DC: 7F860280
	v_mov_b32_e32 v196, 0                                      // 00000000F7E0: 7F880280
	v_mov_b32_e32 v197, 0                                      // 00000000F7E4: 7F8A0280
	v_mov_b32_e32 v198, 0                                      // 00000000F7E8: 7F8C0280
	v_mov_b32_e32 v199, 0                                      // 00000000F7EC: 7F8E0280
	s_waitcnt vmcnt(8) lgkmcnt(0)                              // 00000000F7F0: BF8C0078
	s_barrier                                                  // 00000000F7F4: BF8A0000
	s_cmp_lt_u32 s73, 16                                       // 00000000F7F8: BF0A9049
	s_cbranch_scc1 label_509F                                  // 00000000F7FC: BF851B1F
	s_cmp_lt_i32 s7, 2                                         // 00000000F800: BF048207
	s_cbranch_scc0 label_4312                                  // 00000000F804: BF840D90

000000000000f808 <label_3582>:
	s_waitcnt vmcnt(8) lgkmcnt(0)                              // 00000000F808: BF8C0078
	v_mul_u32_u24_dpp v64, v17, v54 row_newbcast:0 row_mask:0xf bank_mask:0xf// 00000000F80C: 10806CFA FF015011
	v_mul_u32_u24_dpp v65, v17, v54 row_newbcast:4 row_mask:0xf bank_mask:0xf// 00000000F814: 10826CFA FF015411
	v_mul_u32_u24_dpp v66, v17, v54 row_newbcast:8 row_mask:0xf bank_mask:0xf// 00000000F81C: 10846CFA FF015811
	v_mul_u32_u24_dpp v67, v17, v54 row_newbcast:12 row_mask:0xf bank_mask:0xf// 00000000F824: 10866CFA FF015C11
	v_add_u32_e32 v26, v64, v5                                 // 00000000F82C: 68340B40
	v_add_u32_e32 v27, v65, v5                                 // 00000000F830: 68360B41
	v_add_u32_e32 v28, v66, v5                                 // 00000000F834: 68380B42
	v_add_u32_e32 v29, v67, v5                                 // 00000000F838: 683A0B43
	v_mul_u32_u24_dpp v64, v17, v63 quad_perm:[0,0,0,0] row_mask:0xf bank_mask:0xf// 00000000F83C: 10807EFA FF000011
	v_add_u32_e32 v3, v64, v59                                 // 00000000F844: 68067740
	v_mul_u32_u24_dpp v64, v17, v63 quad_perm:[0,0,0,0] row_mask:0xf bank_mask:0xf// 00000000F848: 10807EFA FF000011
	v_add_u32_e32 v56, v64, v60                                // 00000000F850: 68707940
	v_mfma_i32_16x16x32_i8 v[112:115], a[0:1], v[80:81], 0     // 00000000F854: D3D70070 0A02A100
	v_mfma_i32_16x16x32_i8 v[112:115], a[2:3], v[82:83], v[112:115]// 00000000F85C: D3D70070 0DC2A502
	buffer_load_dwordx4 a[32:35], v26, s[16:19], 0 offen       // 00000000F864: E05C1000 8084201A
	v_mfma_i32_16x16x32_i8 v[112:115], a[4:5], v[84:85], v[112:115]// 00000000F86C: D3D70070 0DC2A904
	v_mfma_i32_16x16x32_i8 v[112:115], a[6:7], v[86:87], v[112:115]// 00000000F874: D3D70070 0DC2AD06
	buffer_load_dword v16, v1, s[24:27], 0 offen               // 00000000F87C: E0501000 80061001
	v_mfma_i32_16x16x32_i8 v[116:119], a[8:9], v[80:81], 0     // 00000000F884: D3D70074 0A02A108
	v_mfma_i32_16x16x32_i8 v[116:119], a[10:11], v[82:83], v[116:119]// 00000000F88C: D3D70074 0DD2A50A
	buffer_load_dwordx4 a[36:39], v26, s[16:19], 0 offen offset:1024// 00000000F894: E05C1400 8084241A
	v_mfma_i32_16x16x32_i8 v[116:119], a[12:13], v[84:85], v[116:119]// 00000000F89C: D3D70074 0DD2A90C
	v_mfma_i32_16x16x32_i8 v[116:119], a[14:15], v[86:87], v[116:119]// 00000000F8A4: D3D70074 0DD2AD0E
	v_mfma_i32_16x16x32_i8 v[120:123], a[16:17], v[80:81], 0   // 00000000F8AC: D3D70078 0A02A110
	v_mfma_i32_16x16x32_i8 v[120:123], a[18:19], v[82:83], v[120:123]// 00000000F8B4: D3D70078 0DE2A512
	buffer_load_dwordx4 a[40:43], v27, s[16:19], 0 offen       // 00000000F8BC: E05C1000 8084281B
	v_mfma_i32_16x16x32_i8 v[120:123], a[20:21], v[84:85], v[120:123]// 00000000F8C4: D3D70078 0DE2A914
	v_mfma_i32_16x16x32_i8 v[120:123], a[22:23], v[86:87], v[120:123]// 00000000F8CC: D3D70078 0DE2AD16
	v_mfma_i32_16x16x32_i8 v[124:127], a[24:25], v[80:81], 0   // 00000000F8D4: D3D7007C 0A02A118
	v_mfma_i32_16x16x32_i8 v[124:127], a[26:27], v[82:83], v[124:127]// 00000000F8DC: D3D7007C 0DF2A51A
	buffer_load_dwordx4 a[44:47], v27, s[16:19], 0 offen offset:1024// 00000000F8E4: E05C1400 80842C1B
	v_mfma_i32_16x16x32_i8 v[124:127], a[28:29], v[84:85], v[124:127]// 00000000F8EC: D3D7007C 0DF2A91C
	v_mfma_i32_16x16x32_i8 v[124:127], a[30:31], v[86:87], v[124:127]// 00000000F8F4: D3D7007C 0DF2AD1E
	v_mfma_i32_16x16x32_i8 v[128:131], a[0:1], v[88:89], 0     // 00000000F8FC: D3D70080 0A02B100
	v_mfma_i32_16x16x32_i8 v[128:131], a[2:3], v[90:91], v[128:131]// 00000000F904: D3D70080 0E02B502
	v_mfma_i32_16x16x32_i8 v[128:131], a[4:5], v[92:93], v[128:131]// 00000000F90C: D3D70080 0E02B904
	v_mfma_i32_16x16x32_i8 v[128:131], a[6:7], v[94:95], v[128:131]// 00000000F914: D3D70080 0E02BD06
	v_mfma_i32_16x16x32_i8 v[132:135], a[8:9], v[88:89], 0     // 00000000F91C: D3D70084 0A02B108
	v_mfma_i32_16x16x32_i8 v[132:135], a[10:11], v[90:91], v[132:135]// 00000000F924: D3D70084 0E12B50A
	v_mfma_i32_16x16x32_i8 v[132:135], a[12:13], v[92:93], v[132:135]// 00000000F92C: D3D70084 0E12B90C
	v_mfma_i32_16x16x32_i8 v[132:135], a[14:15], v[94:95], v[132:135]// 00000000F934: D3D70084 0E12BD0E
	v_mfma_i32_16x16x32_i8 v[136:139], a[16:17], v[88:89], 0   // 00000000F93C: D3D70088 0A02B110
	v_mfma_i32_16x16x32_i8 v[136:139], a[18:19], v[90:91], v[136:139]// 00000000F944: D3D70088 0E22B512
	v_mfma_i32_16x16x32_i8 v[136:139], a[20:21], v[92:93], v[136:139]// 00000000F94C: D3D70088 0E22B914
	v_mfma_i32_16x16x32_i8 v[136:139], a[22:23], v[94:95], v[136:139]// 00000000F954: D3D70088 0E22BD16
	v_mfma_i32_16x16x32_i8 v[140:143], a[24:25], v[88:89], 0   // 00000000F95C: D3D7008C 0A02B118
	v_mfma_i32_16x16x32_i8 v[140:143], a[26:27], v[90:91], v[140:143]// 00000000F964: D3D7008C 0E32B51A
	v_mfma_i32_16x16x32_i8 v[140:143], a[28:29], v[92:93], v[140:143]// 00000000F96C: D3D7008C 0E32B91C
	v_mfma_i32_16x16x32_i8 v[140:143], a[30:31], v[94:95], v[140:143]// 00000000F974: D3D7008C 0E32BD1E
	v_mfma_i32_16x16x32_i8 v[144:147], a[0:1], v[96:97], 0     // 00000000F97C: D3D70090 0A02C100
	v_mfma_i32_16x16x32_i8 v[144:147], a[2:3], v[98:99], v[144:147]// 00000000F984: D3D70090 0E42C502
	v_mfma_i32_16x16x32_i8 v[144:147], a[4:5], v[100:101], v[144:147]// 00000000F98C: D3D70090 0E42C904
	v_mfma_i32_16x16x32_i8 v[144:147], a[6:7], v[102:103], v[144:147]// 00000000F994: D3D70090 0E42CD06
	v_mfma_i32_16x16x32_i8 v[148:151], a[8:9], v[96:97], 0     // 00000000F99C: D3D70094 0A02C108
	v_mfma_i32_16x16x32_i8 v[148:151], a[10:11], v[98:99], v[148:151]// 00000000F9A4: D3D70094 0E52C50A
	v_mfma_i32_16x16x32_i8 v[148:151], a[12:13], v[100:101], v[148:151]// 00000000F9AC: D3D70094 0E52C90C
	v_mfma_i32_16x16x32_i8 v[148:151], a[14:15], v[102:103], v[148:151]// 00000000F9B4: D3D70094 0E52CD0E
	v_mfma_i32_16x16x32_i8 v[152:155], a[16:17], v[96:97], 0   // 00000000F9BC: D3D70098 0A02C110
	v_mfma_i32_16x16x32_i8 v[152:155], a[18:19], v[98:99], v[152:155]// 00000000F9C4: D3D70098 0E62C512
	v_mfma_i32_16x16x32_i8 v[152:155], a[20:21], v[100:101], v[152:155]// 00000000F9CC: D3D70098 0E62C914
	v_mfma_i32_16x16x32_i8 v[152:155], a[22:23], v[102:103], v[152:155]// 00000000F9D4: D3D70098 0E62CD16
	v_mfma_i32_16x16x32_i8 v[156:159], a[24:25], v[96:97], 0   // 00000000F9DC: D3D7009C 0A02C118
	v_mfma_i32_16x16x32_i8 v[156:159], a[26:27], v[98:99], v[156:159]// 00000000F9E4: D3D7009C 0E72C51A
	v_mfma_i32_16x16x32_i8 v[156:159], a[28:29], v[100:101], v[156:159]// 00000000F9EC: D3D7009C 0E72C91C
	v_mfma_i32_16x16x32_i8 v[156:159], a[30:31], v[102:103], v[156:159]// 00000000F9F4: D3D7009C 0E72CD1E
	buffer_load_dword v43, v3, s[32:35], 0 offen               // 00000000F9FC: E0501000 80082B03
	v_mov_b32_dpp v64, v42 row_shr:4 row_mask:0xf bank_mask:0xf// 00000000FA04: 7E8002FA FF01142A
	v_mov_b32_dpp v65, v42 row_shl:4 row_mask:0xf bank_mask:0xf// 00000000FA0C: 7E8202FA FF01042A
	v_cndmask_b32_e64 v248, v42, v64, s[44:45]                 // 00000000FA14: D10000F8 00B2812A
	v_cndmask_b32_e64 v249, v65, v42, s[44:45]                 // 00000000FA1C: D10000F9 00B25541
	v_mov_b32_dpp v64, v248 row_shr:8 row_mask:0xf bank_mask:0xf// 00000000FA24: 7E8002FA FF0118F8
	v_mov_b32_dpp v65, v248 row_shl:8 row_mask:0xf bank_mask:0xf// 00000000FA2C: 7E8202FA FF0108F8
	v_mov_b32_dpp v66, v249 row_shr:8 row_mask:0xf bank_mask:0xf// 00000000FA34: 7E8402FA FF0118F9
	v_mov_b32_dpp v67, v249 row_shl:8 row_mask:0xf bank_mask:0xf// 00000000FA3C: 7E8602FA FF0108F9
	v_mov_b32_e32 v68, v248                                    // 00000000FA44: 7E8803F8
	v_mov_b32_e32 v69, v249                                    // 00000000FA48: 7E8A03F9
	v_cndmask_b32_e64 v248, v68, v64, s[42:43]                 // 00000000FA4C: D10000F8 00AA8144
	v_cndmask_b32_e64 v250, v68, v65, s[78:79]                 // 00000000FA54: D10000FA 013A8344
	v_cndmask_b32_e64 v249, v69, v66, s[42:43]                 // 00000000FA5C: D10000F9 00AA8545
	v_cndmask_b32_e64 v251, v69, v67, s[78:79]                 // 00000000FA64: D10000FB 013A8745
	v_mov_b32_dpp v64, v57 row_shr:4 row_mask:0xf bank_mask:0xf// 00000000FA6C: 7E8002FA FF011439
	v_mov_b32_dpp v65, v57 row_shl:4 row_mask:0xf bank_mask:0xf// 00000000FA74: 7E8202FA FF010439
	v_cndmask_b32_e64 v252, v57, v64, s[44:45]                 // 00000000FA7C: D10000FC 00B28139
	v_cndmask_b32_e64 v253, v65, v57, s[44:45]                 // 00000000FA84: D10000FD 00B27341
	v_mov_b32_dpp v64, v252 row_shr:8 row_mask:0xf bank_mask:0xf// 00000000FA8C: 7E8002FA FF0118FC
	v_mov_b32_dpp v65, v252 row_shl:8 row_mask:0xf bank_mask:0xf// 00000000FA94: 7E8202FA FF0108FC
	v_mov_b32_dpp v66, v253 row_shr:8 row_mask:0xf bank_mask:0xf// 00000000FA9C: 7E8402FA FF0118FD
	v_mov_b32_dpp v67, v253 row_shl:8 row_mask:0xf bank_mask:0xf// 00000000FAA4: 7E8602FA FF0108FD
	v_mov_b32_e32 v68, v252                                    // 00000000FAAC: 7E8803FC
	v_mov_b32_e32 v69, v253                                    // 00000000FAB0: 7E8A03FD
	v_cndmask_b32_e64 v252, v68, v64, s[42:43]                 // 00000000FAB4: D10000FC 00AA8144
	v_cndmask_b32_e64 v254, v68, v65, s[78:79]                 // 00000000FABC: D10000FE 013A8344
	v_cndmask_b32_e64 v253, v69, v66, s[42:43]                 // 00000000FAC4: D10000FD 00AA8545
	v_cndmask_b32_e64 v255, v69, v67, s[78:79]                 // 00000000FACC: D10000FF 013A8745
	buffer_load_dword v58, v56, s[36:39], 0 offen              // 00000000FAD4: E0501000 80093A38
	v_cvt_f32_i32_e32 v112, v112                               // 00000000FADC: 7EE00B70
	v_cvt_f32_i32_e32 v113, v113                               // 00000000FAE0: 7EE20B71
	v_cvt_f32_i32_e32 v114, v114                               // 00000000FAE4: 7EE40B72
	v_cvt_f32_i32_e32 v115, v115                               // 00000000FAE8: 7EE60B73
	v_cvt_f32_i32_e32 v116, v116                               // 00000000FAEC: 7EE80B74
	v_cvt_f32_i32_e32 v117, v117                               // 00000000FAF0: 7EEA0B75
	v_cvt_f32_i32_e32 v118, v118                               // 00000000FAF4: 7EEC0B76
	v_cvt_f32_i32_e32 v119, v119                               // 00000000FAF8: 7EEE0B77
	v_cvt_f32_i32_e32 v120, v120                               // 00000000FAFC: 7EF00B78
	v_cvt_f32_i32_e32 v121, v121                               // 00000000FB00: 7EF20B79
	v_cvt_f32_i32_e32 v122, v122                               // 00000000FB04: 7EF40B7A
	v_cvt_f32_i32_e32 v123, v123                               // 00000000FB08: 7EF60B7B
	v_cvt_f32_i32_e32 v124, v124                               // 00000000FB0C: 7EF80B7C
	v_cvt_f32_i32_e32 v125, v125                               // 00000000FB10: 7EFA0B7D
	v_cvt_f32_i32_e32 v126, v126                               // 00000000FB14: 7EFC0B7E
	v_cvt_f32_i32_e32 v127, v127                               // 00000000FB18: 7EFE0B7F
	v_mul_f32_e32 v112, v18, v112                              // 00000000FB1C: 0AE0E112
	v_mul_f32_e32 v113, v18, v113                              // 00000000FB20: 0AE2E312
	v_mul_f32_e32 v114, v18, v114                              // 00000000FB24: 0AE4E512
	v_mul_f32_e32 v115, v18, v115                              // 00000000FB28: 0AE6E712
	v_mul_f32_e32 v116, v18, v116                              // 00000000FB2C: 0AE8E912
	v_mul_f32_e32 v117, v18, v117                              // 00000000FB30: 0AEAEB12
	v_mul_f32_e32 v118, v18, v118                              // 00000000FB34: 0AECED12
	v_mul_f32_e32 v119, v18, v119                              // 00000000FB38: 0AEEEF12
	v_mul_f32_e32 v120, v18, v120                              // 00000000FB3C: 0AF0F112
	v_mul_f32_e32 v121, v18, v121                              // 00000000FB40: 0AF2F312
	v_mul_f32_e32 v122, v18, v122                              // 00000000FB44: 0AF4F512
	v_mul_f32_e32 v123, v18, v123                              // 00000000FB48: 0AF6F712
	v_mul_f32_e32 v124, v18, v124                              // 00000000FB4C: 0AF8F912
	v_mul_f32_e32 v125, v18, v125                              // 00000000FB50: 0AFAFB12
	v_mul_f32_e32 v126, v18, v126                              // 00000000FB54: 0AFCFD12
	v_mul_f32_e32 v127, v18, v127                              // 00000000FB58: 0AFEFF12
	buffer_load_dwordx4 a[48:51], v28, s[16:19], 0 offen       // 00000000FB5C: E05C1000 8084301C
	v_mul_f32_dpp v112, v248, v112 quad_perm:[0,0,0,0] row_mask:0xf bank_mask:0xf// 00000000FB64: 0AE0E0FA FF0000F8
	v_mul_f32_dpp v113, v248, v113 quad_perm:[1,1,1,1] row_mask:0xf bank_mask:0xf// 00000000FB6C: 0AE2E2FA FF0055F8
	v_mul_f32_dpp v114, v248, v114 quad_perm:[2,2,2,2] row_mask:0xf bank_mask:0xf// 00000000FB74: 0AE4E4FA FF00AAF8
	v_mul_f32_dpp v115, v248, v115 quad_perm:[3,3,3,3] row_mask:0xf bank_mask:0xf// 00000000FB7C: 0AE6E6FA FF00FFF8
	v_mul_f32_dpp v116, v249, v116 quad_perm:[0,0,0,0] row_mask:0xf bank_mask:0xf// 00000000FB84: 0AE8E8FA FF0000F9
	v_mul_f32_dpp v117, v249, v117 quad_perm:[1,1,1,1] row_mask:0xf bank_mask:0xf// 00000000FB8C: 0AEAEAFA FF0055F9
	v_mul_f32_dpp v118, v249, v118 quad_perm:[2,2,2,2] row_mask:0xf bank_mask:0xf// 00000000FB94: 0AECECFA FF00AAF9
	v_mul_f32_dpp v119, v249, v119 quad_perm:[3,3,3,3] row_mask:0xf bank_mask:0xf// 00000000FB9C: 0AEEEEFA FF00FFF9
	v_mul_f32_dpp v120, v250, v120 quad_perm:[0,0,0,0] row_mask:0xf bank_mask:0xf// 00000000FBA4: 0AF0F0FA FF0000FA
	v_mul_f32_dpp v121, v250, v121 quad_perm:[1,1,1,1] row_mask:0xf bank_mask:0xf// 00000000FBAC: 0AF2F2FA FF0055FA
	v_mul_f32_dpp v122, v250, v122 quad_perm:[2,2,2,2] row_mask:0xf bank_mask:0xf// 00000000FBB4: 0AF4F4FA FF00AAFA
	v_mul_f32_dpp v123, v250, v123 quad_perm:[3,3,3,3] row_mask:0xf bank_mask:0xf// 00000000FBBC: 0AF6F6FA FF00FFFA
	v_mul_f32_dpp v124, v251, v124 quad_perm:[0,0,0,0] row_mask:0xf bank_mask:0xf// 00000000FBC4: 0AF8F8FA FF0000FB
	v_mul_f32_dpp v125, v251, v125 quad_perm:[1,1,1,1] row_mask:0xf bank_mask:0xf// 00000000FBCC: 0AFAFAFA FF0055FB
	v_mul_f32_dpp v126, v251, v126 quad_perm:[2,2,2,2] row_mask:0xf bank_mask:0xf// 00000000FBD4: 0AFCFCFA FF00AAFB
	v_mul_f32_dpp v127, v251, v127 quad_perm:[3,3,3,3] row_mask:0xf bank_mask:0xf// 00000000FBDC: 0AFEFEFA FF00FFFB
	buffer_load_dwordx4 a[52:55], v28, s[16:19], 0 offen offset:1024// 00000000FBE4: E05C1400 8084341C
	v_mov_b32_e32 v48, v112                                    // 00000000FBEC: 7E600370
	v_max3_f32 v48, v112, v113, v48                            // 00000000FBF0: D1D30030 04C2E370
	v_max3_f32 v48, v114, v115, v48                            // 00000000FBF8: D1D30030 04C2E772
	v_max3_f32 v48, v116, v117, v48                            // 00000000FC00: D1D30030 04C2EB74
	v_max3_f32 v48, v118, v119, v48                            // 00000000FC08: D1D30030 04C2EF76
	v_max3_f32 v48, v120, v121, v48                            // 00000000FC10: D1D30030 04C2F378
	v_max3_f32 v48, v122, v123, v48                            // 00000000FC18: D1D30030 04C2F77A
	v_max3_f32 v48, v124, v125, v48                            // 00000000FC20: D1D30030 04C2FB7C
	v_max3_f32 v48, v126, v127, v48                            // 00000000FC28: D1D30030 04C2FF7E
	ds_write_b32 v8, v48 offset:16896                          // 00000000FC30: D81A4200 00003008
	buffer_load_dwordx4 a[56:59], v29, s[16:19], 0 offen       // 00000000FC38: E05C1000 8084381D
	v_mul_u32_u24_dpp v64, v17, v54 row_newbcast:1 row_mask:0xf bank_mask:0xf// 00000000FC40: 10806CFA FF015111
	v_mul_u32_u24_dpp v65, v17, v54 row_newbcast:5 row_mask:0xf bank_mask:0xf// 00000000FC48: 10826CFA FF015511
	v_mul_u32_u24_dpp v66, v17, v54 row_newbcast:9 row_mask:0xf bank_mask:0xf// 00000000FC50: 10846CFA FF015911
	v_mul_u32_u24_dpp v67, v17, v54 row_newbcast:13 row_mask:0xf bank_mask:0xf// 00000000FC58: 10866CFA FF015D11
	v_add_u32_e32 v34, v64, v6                                 // 00000000FC60: 68440D40
	v_add_u32_e32 v35, v65, v6                                 // 00000000FC64: 68460D41
	v_add_u32_e32 v36, v66, v6                                 // 00000000FC68: 68480D42
	v_add_u32_e32 v37, v67, v6                                 // 00000000FC6C: 684A0D43
	v_mul_f32_e32 v208, v49, v208                              // 00000000FC70: 0BA1A131
	v_mul_f32_e32 v209, v49, v209                              // 00000000FC74: 0BA3A331
	v_mul_f32_e32 v210, v49, v210                              // 00000000FC78: 0BA5A531
	v_mul_f32_e32 v211, v49, v211                              // 00000000FC7C: 0BA7A731
	v_mul_f32_e32 v212, v49, v212                              // 00000000FC80: 0BA9A931
	v_mul_f32_e32 v213, v49, v213                              // 00000000FC84: 0BABAB31
	v_mul_f32_e32 v214, v49, v214                              // 00000000FC88: 0BADAD31
	v_mul_f32_e32 v215, v49, v215                              // 00000000FC8C: 0BAFAF31
	s_waitcnt lgkmcnt(0)                                       // 00000000FC90: BF8CC07F
	s_barrier                                                  // 00000000FC94: BF8A0000
	ds_read_b32 v64, v7 offset:16896                           // 00000000FC98: D86C4200 40000007
	ds_read_b32 v65, v7 offset:16960                           // 00000000FCA0: D86C4240 41000007
	ds_read_b32 v66, v7 offset:17024                           // 00000000FCA8: D86C4280 42000007
	ds_read_b32 v67, v7 offset:17088                           // 00000000FCB0: D86C42C0 43000007
	ds_read_b32 v68, v7 offset:17152                           // 00000000FCB8: D86C4300 44000007
	ds_read_b32 v69, v7 offset:17216                           // 00000000FCC0: D86C4340 45000007
	ds_read_b32 v70, v7 offset:17280                           // 00000000FCC8: D86C4380 46000007
	ds_read_b32 v71, v7 offset:17344                           // 00000000FCD0: D86C43C0 47000007
	ds_read_b32 v72, v7 offset:17408                           // 00000000FCD8: D86C4400 48000007
	ds_read_b32 v73, v7 offset:17472                           // 00000000FCE0: D86C4440 49000007
	ds_read_b32 v74, v7 offset:17536                           // 00000000FCE8: D86C4480 4A000007
	ds_read_b32 v75, v7 offset:17600                           // 00000000FCF0: D86C44C0 4B000007
	ds_read_b32 v76, v7 offset:17664                           // 00000000FCF8: D86C4500 4C000007
	ds_read_b32 v77, v7 offset:17728                           // 00000000FD00: D86C4540 4D000007
	ds_read_b32 v78, v7 offset:17792                           // 00000000FD08: D86C4580 4E000007
	ds_read_b32 v79, v7 offset:17856                           // 00000000FD10: D86C45C0 4F000007
	buffer_load_dwordx4 a[60:63], v29, s[16:19], 0 offen offset:1024// 00000000FD18: E05C1400 80843C1D
	v_cvt_f32_i32_e32 v176, v176                               // 00000000FD20: 7F600BB0
	v_cvt_f32_i32_e32 v177, v177                               // 00000000FD24: 7F620BB1
	v_cvt_f32_i32_e32 v178, v178                               // 00000000FD28: 7F640BB2
	v_cvt_f32_i32_e32 v179, v179                               // 00000000FD2C: 7F660BB3
	v_cvt_f32_i32_e32 v180, v180                               // 00000000FD30: 7F680BB4
	v_cvt_f32_i32_e32 v181, v181                               // 00000000FD34: 7F6A0BB5
	v_cvt_f32_i32_e32 v182, v182                               // 00000000FD38: 7F6C0BB6
	v_cvt_f32_i32_e32 v183, v183                               // 00000000FD3C: 7F6E0BB7
	v_mul_f32_e32 v176, v44, v176                              // 00000000FD40: 0B61612C
	v_mul_f32_e32 v177, v44, v177                              // 00000000FD44: 0B63632C
	v_mul_f32_e32 v178, v44, v178                              // 00000000FD48: 0B65652C
	v_mul_f32_e32 v179, v44, v179                              // 00000000FD4C: 0B67672C
	v_mul_f32_e32 v180, v44, v180                              // 00000000FD50: 0B69692C
	v_mul_f32_e32 v181, v44, v181                              // 00000000FD54: 0B6B6B2C
	v_mul_f32_e32 v182, v44, v182                              // 00000000FD58: 0B6D6D2C
	v_mul_f32_e32 v183, v44, v183                              // 00000000FD5C: 0B6F6F2C
	s_waitcnt lgkmcnt(0)                                       // 00000000FD60: BF8CC07F
	v_max3_f32 v48, v64, v65, v48                              // 00000000FD64: D1D30030 04C28340
	v_max3_f32 v48, v66, v67, v48                              // 00000000FD6C: D1D30030 04C28742
	v_max3_f32 v48, v68, v69, v48                              // 00000000FD74: D1D30030 04C28B44
	v_max3_f32 v48, v70, v71, v48                              // 00000000FD7C: D1D30030 04C28F46
	v_max3_f32 v48, v72, v73, v48                              // 00000000FD84: D1D30030 04C29348
	v_max3_f32 v48, v74, v75, v48                              // 00000000FD8C: D1D30030 04C2974A
	v_max3_f32 v48, v76, v77, v48                              // 00000000FD94: D1D30030 04C29B4C
	v_max3_f32 v48, v78, v79, v48                              // 00000000FD9C: D1D30030 04C29F4E
	buffer_load_dwordx4 a[96:99], v34, s[20:23], 0 offen       // 00000000FDA4: E05C1000 80856022
	v_mov_b32_e32 v64, 0xff800000                              // 00000000FDAC: 7E8002FF FF800000
	v_cmp_eq_u32_e64 s[40:41], v64, v11                        // 00000000FDB4: D0CA0028 00021740
	s_nop 1                                                    // 00000000FDBC: BF800001
	v_max_f32_e32 v15, v48, v11                                // 00000000FDC0: 161E1730
	v_mul_f32_e32 v53, s64, v15                                // 00000000FDC4: 0A6A1E40
	v_fma_f32 v112, v112, s64, -v53                            // 00000000FDC8: D1CB0070 84D48170
	v_fma_f32 v113, v113, s64, -v53                            // 00000000FDD0: D1CB0071 84D48171
	v_fma_f32 v114, v114, s64, -v53                            // 00000000FDD8: D1CB0072 84D48172
	v_fma_f32 v115, v115, s64, -v53                            // 00000000FDE0: D1CB0073 84D48173
	v_fma_f32 v116, v116, s64, -v53                            // 00000000FDE8: D1CB0074 84D48174
	v_fma_f32 v117, v117, s64, -v53                            // 00000000FDF0: D1CB0075 84D48175
	v_fma_f32 v118, v118, s64, -v53                            // 00000000FDF8: D1CB0076 84D48176
	v_fma_f32 v119, v119, s64, -v53                            // 00000000FE00: D1CB0077 84D48177
	v_fma_f32 v120, v120, s64, -v53                            // 00000000FE08: D1CB0078 84D48178
	v_fma_f32 v121, v121, s64, -v53                            // 00000000FE10: D1CB0079 84D48179
	v_fma_f32 v122, v122, s64, -v53                            // 00000000FE18: D1CB007A 84D4817A
	v_fma_f32 v123, v123, s64, -v53                            // 00000000FE20: D1CB007B 84D4817B
	v_fma_f32 v124, v124, s64, -v53                            // 00000000FE28: D1CB007C 84D4817C
	v_fma_f32 v125, v125, s64, -v53                            // 00000000FE30: D1CB007D 84D4817D
	v_fma_f32 v126, v126, s64, -v53                            // 00000000FE38: D1CB007E 84D4817E
	v_fma_f32 v127, v127, s64, -v53                            // 00000000FE40: D1CB007F 84D4817F
	buffer_load_dwordx4 a[100:103], v35, s[20:23], 0 offen     // 00000000FE48: E05C1000 80856423
	v_exp_f32_e32 v112, v112                                   // 00000000FE50: 7EE04170
	v_exp_f32_e32 v113, v113                                   // 00000000FE54: 7EE24171
	v_exp_f32_e32 v114, v114                                   // 00000000FE58: 7EE44172
	v_exp_f32_e32 v115, v115                                   // 00000000FE5C: 7EE64173
	v_exp_f32_e32 v116, v116                                   // 00000000FE60: 7EE84174
	v_exp_f32_e32 v117, v117                                   // 00000000FE64: 7EEA4175
	v_exp_f32_e32 v118, v118                                   // 00000000FE68: 7EEC4176
	v_exp_f32_e32 v119, v119                                   // 00000000FE6C: 7EEE4177
	v_exp_f32_e32 v120, v120                                   // 00000000FE70: 7EF04178
	v_exp_f32_e32 v121, v121                                   // 00000000FE74: 7EF24179
	v_exp_f32_e32 v122, v122                                   // 00000000FE78: 7EF4417A
	v_exp_f32_e32 v123, v123                                   // 00000000FE7C: 7EF6417B
	v_exp_f32_e32 v124, v124                                   // 00000000FE80: 7EF8417C
	v_exp_f32_e32 v125, v125                                   // 00000000FE84: 7EFA417D
	v_exp_f32_e32 v126, v126                                   // 00000000FE88: 7EFC417E
	v_exp_f32_e32 v127, v127                                   // 00000000FE8C: 7EFE417F
	buffer_load_dwordx4 a[104:107], v36, s[20:23], 0 offen     // 00000000FE90: E05C1000 80856824
	v_mul_f32_dpp v240, v252, v112 quad_perm:[0,0,0,0] row_mask:0xf bank_mask:0xf// 00000000FE98: 0BE0E0FA FF0000FC
	v_mul_f32_dpp v241, v252, v113 quad_perm:[1,1,1,1] row_mask:0xf bank_mask:0xf// 00000000FEA0: 0BE2E2FA FF0055FC
	v_mul_f32_dpp v242, v252, v114 quad_perm:[2,2,2,2] row_mask:0xf bank_mask:0xf// 00000000FEA8: 0BE4E4FA FF00AAFC
	v_mul_f32_dpp v243, v252, v115 quad_perm:[3,3,3,3] row_mask:0xf bank_mask:0xf// 00000000FEB0: 0BE6E6FA FF00FFFC
	v_mul_f32_dpp v244, v253, v116 quad_perm:[0,0,0,0] row_mask:0xf bank_mask:0xf// 00000000FEB8: 0BE8E8FA FF0000FD
	v_mul_f32_dpp v245, v253, v117 quad_perm:[1,1,1,1] row_mask:0xf bank_mask:0xf// 00000000FEC0: 0BEAEAFA FF0055FD
	v_mul_f32_dpp v246, v253, v118 quad_perm:[2,2,2,2] row_mask:0xf bank_mask:0xf// 00000000FEC8: 0BECECFA FF00AAFD
	v_mul_f32_dpp v247, v253, v119 quad_perm:[3,3,3,3] row_mask:0xf bank_mask:0xf// 00000000FED0: 0BEEEEFA FF00FFFD
	v_mul_f32_dpp v248, v254, v120 quad_perm:[0,0,0,0] row_mask:0xf bank_mask:0xf// 00000000FED8: 0BF0F0FA FF0000FE
	v_mul_f32_dpp v249, v254, v121 quad_perm:[1,1,1,1] row_mask:0xf bank_mask:0xf// 00000000FEE0: 0BF2F2FA FF0055FE
	v_mul_f32_dpp v250, v254, v122 quad_perm:[2,2,2,2] row_mask:0xf bank_mask:0xf// 00000000FEE8: 0BF4F4FA FF00AAFE
	v_mul_f32_dpp v251, v254, v123 quad_perm:[3,3,3,3] row_mask:0xf bank_mask:0xf// 00000000FEF0: 0BF6F6FA FF00FFFE
	v_mul_f32_dpp v252, v255, v124 quad_perm:[0,0,0,0] row_mask:0xf bank_mask:0xf// 00000000FEF8: 0BF8F8FA FF0000FF
	v_mul_f32_dpp v253, v255, v125 quad_perm:[1,1,1,1] row_mask:0xf bank_mask:0xf// 00000000FF00: 0BFAFAFA FF0055FF
	v_mul_f32_dpp v254, v255, v126 quad_perm:[2,2,2,2] row_mask:0xf bank_mask:0xf// 00000000FF08: 0BFCFCFA FF00AAFF
	v_mul_f32_dpp v255, v255, v127 quad_perm:[3,3,3,3] row_mask:0xf bank_mask:0xf// 00000000FF10: 0BFEFEFA FF00FFFF
	v_mov_b32_e32 v48, 0x358637bd                              // 00000000FF18: 7E6002FF 358637BD
	v_max3_f32 v48, |v240|, |v241|, v48                        // 00000000FF20: D1D30330 04C3E3F0
	v_max3_f32 v48, |v242|, |v243|, v48                        // 00000000FF28: D1D30330 04C3E7F2
	v_max3_f32 v48, |v244|, |v245|, v48                        // 00000000FF30: D1D30330 04C3EBF4
	v_max3_f32 v48, |v246|, |v247|, v48                        // 00000000FF38: D1D30330 04C3EFF6
	v_max3_f32 v48, |v248|, |v249|, v48                        // 00000000FF40: D1D30330 04C3F3F8
	v_max3_f32 v48, |v250|, |v251|, v48                        // 00000000FF48: D1D30330 04C3F7FA
	v_max3_f32 v48, |v252|, |v253|, v48                        // 00000000FF50: D1D30330 04C3FBFC
	v_max3_f32 v48, |v254|, |v255|, v48                        // 00000000FF58: D1D30330 04C3FFFE
	buffer_load_dwordx4 a[108:111], v37, s[20:23], 0 offen     // 00000000FF60: E05C1000 80856C25
	ds_write_b32 v8, v48 offset:20992                          // 00000000FF68: D81A5200 00003008
	v_sub_f32_e32 v49, v11, v15                                // 00000000FF70: 04621F0B
	v_cndmask_b32_e64 v49, v49, 0, s[40:41]                    // 00000000FF74: D1000031 00A10131
	v_mov_b32_e32 v11, v15                                     // 00000000FF7C: 7E16030F
	v_mul_f32_e32 v49, s64, v49                                // 00000000FF80: 0A626240
	v_exp_f32_e32 v49, v49                                     // 00000000FF84: 7E624131
	s_waitcnt lgkmcnt(0)                                       // 00000000FF88: BF8CC07F
	s_barrier                                                  // 00000000FF8C: BF8A0000
	ds_read_b32 v64, v7 offset:20992                           // 00000000FF90: D86C5200 40000007
	ds_read_b32 v65, v7 offset:21056                           // 00000000FF98: D86C5240 41000007
	ds_read_b32 v66, v7 offset:21120                           // 00000000FFA0: D86C5280 42000007
	ds_read_b32 v67, v7 offset:21184                           // 00000000FFA8: D86C52C0 43000007
	ds_read_b32 v68, v7 offset:21248                           // 00000000FFB0: D86C5300 44000007
	ds_read_b32 v69, v7 offset:21312                           // 00000000FFB8: D86C5340 45000007
	ds_read_b32 v70, v7 offset:21376                           // 00000000FFC0: D86C5380 46000007
	ds_read_b32 v71, v7 offset:21440                           // 00000000FFC8: D86C53C0 47000007
	ds_read_b32 v72, v7 offset:21504                           // 00000000FFD0: D86C5400 48000007
	ds_read_b32 v73, v7 offset:21568                           // 00000000FFD8: D86C5440 49000007
	ds_read_b32 v74, v7 offset:21632                           // 00000000FFE0: D86C5480 4A000007
	ds_read_b32 v75, v7 offset:21696                           // 00000000FFE8: D86C54C0 4B000007
	ds_read_b32 v76, v7 offset:21760                           // 00000000FFF0: D86C5500 4C000007
	ds_read_b32 v77, v7 offset:21824                           // 00000000FFF8: D86C5540 4D000007
	ds_read_b32 v78, v7 offset:21888                           // 000000010000: D86C5580 4E000007
	ds_read_b32 v79, v7 offset:21952                           // 000000010008: D86C55C0 4F000007
	v_mul_f32_e32 v38, v49, v38                                // 000000010010: 0A4C4D31
	v_mov_b32_e32 v15, v112                                    // 000000010014: 7E1E0370
	v_add_f32_e32 v15, v113, v15                               // 000000010018: 021E1F71
	v_add_f32_e32 v15, v114, v15                               // 00000001001C: 021E1F72
	v_add_f32_e32 v15, v115, v15                               // 000000010020: 021E1F73
	v_add_f32_e32 v15, v116, v15                               // 000000010024: 021E1F74
	v_add_f32_e32 v15, v117, v15                               // 000000010028: 021E1F75
	v_add_f32_e32 v15, v118, v15                               // 00000001002C: 021E1F76
	v_add_f32_e32 v15, v119, v15                               // 000000010030: 021E1F77
	v_add_f32_e32 v15, v120, v15                               // 000000010034: 021E1F78
	v_add_f32_e32 v15, v121, v15                               // 000000010038: 021E1F79
	v_add_f32_e32 v15, v122, v15                               // 00000001003C: 021E1F7A
	v_add_f32_e32 v15, v123, v15                               // 000000010040: 021E1F7B
	v_add_f32_e32 v15, v124, v15                               // 000000010044: 021E1F7C
	v_add_f32_e32 v15, v125, v15                               // 000000010048: 021E1F7D
	v_add_f32_e32 v15, v126, v15                               // 00000001004C: 021E1F7E
	v_add_f32_e32 v15, v127, v15                               // 000000010050: 021E1F7F
	v_add_f32_e32 v38, v15, v38                                // 000000010054: 024C4D0F
	s_waitcnt lgkmcnt(0)                                       // 000000010058: BF8CC07F
	v_max3_f32 v48, |v64|, |v65|, v48                          // 00000001005C: D1D30330 04C28340
	v_max3_f32 v48, |v66|, |v67|, v48                          // 000000010064: D1D30330 04C28742
	v_max3_f32 v48, |v68|, |v69|, v48                          // 00000001006C: D1D30330 04C28B44
	v_max3_f32 v48, |v70|, |v71|, v48                          // 000000010074: D1D30330 04C28F46
	v_max3_f32 v48, |v72|, |v73|, v48                          // 00000001007C: D1D30330 04C29348
	v_max3_f32 v48, |v74|, |v75|, v48                          // 000000010084: D1D30330 04C2974A
	v_max3_f32 v48, |v76|, |v77|, v48                          // 00000001008C: D1D30330 04C29B4C
	v_max3_f32 v48, |v78|, |v79|, v48                          // 000000010094: D1D30330 04C29F4E
	s_nop 2                                                    // 00000001009C: BF800002
	v_rcp_f32_e32 v48, v48                                     // 0000000100A0: 7E604530
	s_nop 1                                                    // 0000000100A4: BF800001
	v_mul_f32_e32 v48, 0x42fe0000, v48                         // 0000000100A8: 0A6060FF 42FE0000
	v_mul_f32_e32 v112, v48, v240                              // 0000000100B0: 0AE1E130
	v_mul_f32_e32 v113, v48, v241                              // 0000000100B4: 0AE3E330
	v_mul_f32_e32 v114, v48, v242                              // 0000000100B8: 0AE5E530
	v_mul_f32_e32 v115, v48, v243                              // 0000000100BC: 0AE7E730
	v_mul_f32_e32 v116, v48, v244                              // 0000000100C0: 0AE9E930
	v_mul_f32_e32 v117, v48, v245                              // 0000000100C4: 0AEBEB30
	v_mul_f32_e32 v118, v48, v246                              // 0000000100C8: 0AEDED30
	v_mul_f32_e32 v119, v48, v247                              // 0000000100CC: 0AEFEF30
	v_mul_f32_e32 v120, v48, v248                              // 0000000100D0: 0AF1F130
	v_mul_f32_e32 v121, v48, v249                              // 0000000100D4: 0AF3F330
	v_mul_f32_e32 v122, v48, v250                              // 0000000100D8: 0AF5F530
	v_mul_f32_e32 v123, v48, v251                              // 0000000100DC: 0AF7F730
	v_mul_f32_e32 v124, v48, v252                              // 0000000100E0: 0AF9F930
	v_mul_f32_e32 v125, v48, v253                              // 0000000100E4: 0AFBFB30
	v_mul_f32_e32 v126, v48, v254                              // 0000000100E8: 0AFDFD30
	v_mul_f32_e32 v127, v48, v255                              // 0000000100EC: 0AFFFF30
	v_cvt_i32_f32_e32 v112, v112                               // 0000000100F0: 7EE01170
	v_cvt_i32_f32_e32 v113, v113                               // 0000000100F4: 7EE21171
	v_cvt_i32_f32_e32 v114, v114                               // 0000000100F8: 7EE41172
	v_cvt_i32_f32_e32 v115, v115                               // 0000000100FC: 7EE61173
	v_cvt_i32_f32_e32 v116, v116                               // 000000010100: 7EE81174
	v_cvt_i32_f32_e32 v117, v117                               // 000000010104: 7EEA1175
	v_cvt_i32_f32_e32 v118, v118                               // 000000010108: 7EEC1176
	v_cvt_i32_f32_e32 v119, v119                               // 00000001010C: 7EEE1177
	v_cvt_i32_f32_e32 v120, v120                               // 000000010110: 7EF01178
	v_cvt_i32_f32_e32 v121, v121                               // 000000010114: 7EF21179
	v_cvt_i32_f32_e32 v122, v122                               // 000000010118: 7EF4117A
	v_cvt_i32_f32_e32 v123, v123                               // 00000001011C: 7EF6117B
	v_cvt_i32_f32_e32 v124, v124                               // 000000010120: 7EF8117C
	v_cvt_i32_f32_e32 v125, v125                               // 000000010124: 7EFA117D
	v_cvt_i32_f32_e32 v126, v126                               // 000000010128: 7EFC117E
	v_cvt_i32_f32_e32 v127, v127                               // 00000001012C: 7EFE117F
	v_perm_b32 v112, v113, v112, s53                           // 000000010130: D1ED0070 00D6E171
	v_perm_b32 v112, v114, v112, s54                           // 000000010138: D1ED0070 00DAE172
	v_perm_b32 v112, v115, v112, s55                           // 000000010140: D1ED0070 00DEE173
	v_perm_b32 v113, v117, v116, s53                           // 000000010148: D1ED0071 00D6E975
	v_perm_b32 v113, v118, v113, s54                           // 000000010150: D1ED0071 00DAE376
	v_perm_b32 v113, v119, v113, s55                           // 000000010158: D1ED0071 00DEE377
	v_perm_b32 v114, v121, v120, s53                           // 000000010160: D1ED0072 00D6F179
	v_perm_b32 v114, v122, v114, s54                           // 000000010168: D1ED0072 00DAE57A
	v_perm_b32 v114, v123, v114, s55                           // 000000010170: D1ED0072 00DEE57B
	v_perm_b32 v115, v125, v124, s53                           // 000000010178: D1ED0073 00D6F97D
	v_perm_b32 v115, v126, v115, s54                           // 000000010180: D1ED0073 00DAE77E
	v_perm_b32 v115, v127, v115, s55                           // 000000010188: D1ED0073 00DEE77F
	ds_write_b32 v10, v112 offset:25088                        // 000000010190: D81A6200 0000700A
	ds_write_b32 v10, v113 offset:26112                        // 000000010198: D81A6600 0000710A
	ds_write_b32 v10, v114 offset:27136                        // 0000000101A0: D81A6A00 0000720A
	ds_write_b32 v10, v115 offset:28160                        // 0000000101A8: D81A6E00 0000730A
	v_add_f32_e32 v208, v208, v176                             // 0000000101B0: 03A161D0
	v_add_f32_e32 v209, v209, v177                             // 0000000101B4: 03A363D1
	v_add_f32_e32 v210, v210, v178                             // 0000000101B8: 03A565D2
	v_add_f32_e32 v211, v211, v179                             // 0000000101BC: 03A767D3
	v_add_f32_e32 v212, v212, v180                             // 0000000101C0: 03A969D4
	v_add_f32_e32 v213, v213, v181                             // 0000000101C4: 03AB6BD5
	v_add_f32_e32 v214, v214, v182                             // 0000000101C8: 03AD6DD6
	v_add_f32_e32 v215, v215, v183                             // 0000000101CC: 03AF6FD7
	v_rcp_f32_e32 v44, v48                                     // 0000000101D0: 7E584530
	s_waitcnt lgkmcnt(0)                                       // 0000000101D4: BF8CC07F
	s_barrier                                                  // 0000000101D8: BF8A0000
	ds_read_b64 v[112:113], v9 offset:25088                    // 0000000101DC: D8EC6200 70000009
	ds_read_b64 v[114:115], v9 offset:25216                    // 0000000101E4: D8EC6280 72000009
	ds_read_b64 v[116:117], v9 offset:26112                    // 0000000101EC: D8EC6600 74000009
	ds_read_b64 v[118:119], v9 offset:26240                    // 0000000101F4: D8EC6680 76000009
	ds_read_b64 v[120:121], v9 offset:27136                    // 0000000101FC: D8EC6A00 78000009
	ds_read_b64 v[122:123], v9 offset:27264                    // 000000010204: D8EC6A80 7A000009
	ds_read_b64 v[124:125], v9 offset:28160                    // 00000001020C: D8EC6E00 7C000009
	ds_read_b64 v[126:127], v9 offset:28288                    // 000000010214: D8EC6E80 7E000009
	v_mov_b32_dpp v64, v42 row_shr:4 row_mask:0xf bank_mask:0xf// 00000001021C: 7E8002FA FF01142A
	v_mov_b32_dpp v65, v42 row_shl:4 row_mask:0xf bank_mask:0xf// 000000010224: 7E8202FA FF01042A
	v_cndmask_b32_e64 v248, v42, v64, s[44:45]                 // 00000001022C: D10000F8 00B2812A
	v_cndmask_b32_e64 v249, v65, v42, s[44:45]                 // 000000010234: D10000F9 00B25541
	v_mov_b32_dpp v64, v248 row_shr:8 row_mask:0xf bank_mask:0xf// 00000001023C: 7E8002FA FF0118F8
	v_mov_b32_dpp v65, v248 row_shl:8 row_mask:0xf bank_mask:0xf// 000000010244: 7E8202FA FF0108F8
	v_mov_b32_dpp v66, v249 row_shr:8 row_mask:0xf bank_mask:0xf// 00000001024C: 7E8402FA FF0118F9
	v_mov_b32_dpp v67, v249 row_shl:8 row_mask:0xf bank_mask:0xf// 000000010254: 7E8602FA FF0108F9
	v_mov_b32_e32 v68, v248                                    // 00000001025C: 7E8803F8
	v_mov_b32_e32 v69, v249                                    // 000000010260: 7E8A03F9
	v_cndmask_b32_e64 v248, v68, v64, s[42:43]                 // 000000010264: D10000F8 00AA8144
	v_cndmask_b32_e64 v250, v68, v65, s[78:79]                 // 00000001026C: D10000FA 013A8344
	v_cndmask_b32_e64 v249, v69, v66, s[42:43]                 // 000000010274: D10000F9 00AA8545
	v_cndmask_b32_e64 v251, v69, v67, s[78:79]                 // 00000001027C: D10000FB 013A8745
	v_mov_b32_dpp v64, v57 row_shr:4 row_mask:0xf bank_mask:0xf// 000000010284: 7E8002FA FF011439
	v_mov_b32_dpp v65, v57 row_shl:4 row_mask:0xf bank_mask:0xf// 00000001028C: 7E8202FA FF010439
	v_cndmask_b32_e64 v252, v57, v64, s[44:45]                 // 000000010294: D10000FC 00B28139
	v_cndmask_b32_e64 v253, v65, v57, s[44:45]                 // 00000001029C: D10000FD 00B27341
	v_mov_b32_dpp v64, v252 row_shr:8 row_mask:0xf bank_mask:0xf// 0000000102A4: 7E8002FA FF0118FC
	v_mov_b32_dpp v65, v252 row_shl:8 row_mask:0xf bank_mask:0xf// 0000000102AC: 7E8202FA FF0108FC
	v_mov_b32_dpp v66, v253 row_shr:8 row_mask:0xf bank_mask:0xf// 0000000102B4: 7E8402FA FF0118FD
	v_mov_b32_dpp v67, v253 row_shl:8 row_mask:0xf bank_mask:0xf// 0000000102BC: 7E8602FA FF0108FD
	v_mov_b32_e32 v68, v252                                    // 0000000102C4: 7E8803FC
	v_mov_b32_e32 v69, v253                                    // 0000000102C8: 7E8A03FD
	v_cndmask_b32_e64 v252, v68, v64, s[42:43]                 // 0000000102CC: D10000FC 00AA8144
	v_cndmask_b32_e64 v254, v68, v65, s[78:79]                 // 0000000102D4: D10000FE 013A8344
	v_cndmask_b32_e64 v253, v69, v66, s[42:43]                 // 0000000102DC: D10000FD 00AA8545
	v_cndmask_b32_e64 v255, v69, v67, s[78:79]                 // 0000000102E4: D10000FF 013A8745
	v_cvt_f32_i32_e32 v128, v128                               // 0000000102EC: 7F000B80
	v_cvt_f32_i32_e32 v129, v129                               // 0000000102F0: 7F020B81
	v_cvt_f32_i32_e32 v130, v130                               // 0000000102F4: 7F040B82
	v_cvt_f32_i32_e32 v131, v131                               // 0000000102F8: 7F060B83
	v_cvt_f32_i32_e32 v132, v132                               // 0000000102FC: 7F080B84
	v_cvt_f32_i32_e32 v133, v133                               // 000000010300: 7F0A0B85
	v_cvt_f32_i32_e32 v134, v134                               // 000000010304: 7F0C0B86
	v_cvt_f32_i32_e32 v135, v135                               // 000000010308: 7F0E0B87
	v_cvt_f32_i32_e32 v136, v136                               // 00000001030C: 7F100B88
	v_cvt_f32_i32_e32 v137, v137                               // 000000010310: 7F120B89
	v_cvt_f32_i32_e32 v138, v138                               // 000000010314: 7F140B8A
	v_cvt_f32_i32_e32 v139, v139                               // 000000010318: 7F160B8B
	v_cvt_f32_i32_e32 v140, v140                               // 00000001031C: 7F180B8C
	v_cvt_f32_i32_e32 v141, v141                               // 000000010320: 7F1A0B8D
	v_cvt_f32_i32_e32 v142, v142                               // 000000010324: 7F1C0B8E
	v_cvt_f32_i32_e32 v143, v143                               // 000000010328: 7F1E0B8F
	v_mul_f32_e32 v128, v19, v128                              // 00000001032C: 0B010113
	v_mul_f32_e32 v129, v19, v129                              // 000000010330: 0B030313
	v_mul_f32_e32 v130, v19, v130                              // 000000010334: 0B050513
	v_mul_f32_e32 v131, v19, v131                              // 000000010338: 0B070713
	v_mul_f32_e32 v132, v19, v132                              // 00000001033C: 0B090913
	v_mul_f32_e32 v133, v19, v133                              // 000000010340: 0B0B0B13
	v_mul_f32_e32 v134, v19, v134                              // 000000010344: 0B0D0D13
	v_mul_f32_e32 v135, v19, v135                              // 000000010348: 0B0F0F13
	v_mul_f32_e32 v136, v19, v136                              // 00000001034C: 0B111113
	v_mul_f32_e32 v137, v19, v137                              // 000000010350: 0B131313
	v_mul_f32_e32 v138, v19, v138                              // 000000010354: 0B151513
	v_mul_f32_e32 v139, v19, v139                              // 000000010358: 0B171713
	v_mul_f32_e32 v140, v19, v140                              // 00000001035C: 0B191913
	v_mul_f32_e32 v141, v19, v141                              // 000000010360: 0B1B1B13
	v_mul_f32_e32 v142, v19, v142                              // 000000010364: 0B1D1D13
	v_mul_f32_e32 v143, v19, v143                              // 000000010368: 0B1F1F13
	v_mul_f32_dpp v128, v248, v128 quad_perm:[0,0,0,0] row_mask:0xf bank_mask:0xf// 00000001036C: 0B0100FA FF0000F8
	v_mul_f32_dpp v129, v248, v129 quad_perm:[1,1,1,1] row_mask:0xf bank_mask:0xf// 000000010374: 0B0302FA FF0055F8
	v_mul_f32_dpp v130, v248, v130 quad_perm:[2,2,2,2] row_mask:0xf bank_mask:0xf// 00000001037C: 0B0504FA FF00AAF8
	v_mul_f32_dpp v131, v248, v131 quad_perm:[3,3,3,3] row_mask:0xf bank_mask:0xf// 000000010384: 0B0706FA FF00FFF8
	v_mul_f32_dpp v132, v249, v132 quad_perm:[0,0,0,0] row_mask:0xf bank_mask:0xf// 00000001038C: 0B0908FA FF0000F9
	v_mul_f32_dpp v133, v249, v133 quad_perm:[1,1,1,1] row_mask:0xf bank_mask:0xf// 000000010394: 0B0B0AFA FF0055F9
	v_mul_f32_dpp v134, v249, v134 quad_perm:[2,2,2,2] row_mask:0xf bank_mask:0xf// 00000001039C: 0B0D0CFA FF00AAF9
	v_mul_f32_dpp v135, v249, v135 quad_perm:[3,3,3,3] row_mask:0xf bank_mask:0xf// 0000000103A4: 0B0F0EFA FF00FFF9
	v_mul_f32_dpp v136, v250, v136 quad_perm:[0,0,0,0] row_mask:0xf bank_mask:0xf// 0000000103AC: 0B1110FA FF0000FA
	v_mul_f32_dpp v137, v250, v137 quad_perm:[1,1,1,1] row_mask:0xf bank_mask:0xf// 0000000103B4: 0B1312FA FF0055FA
	v_mul_f32_dpp v138, v250, v138 quad_perm:[2,2,2,2] row_mask:0xf bank_mask:0xf// 0000000103BC: 0B1514FA FF00AAFA
	v_mul_f32_dpp v139, v250, v139 quad_perm:[3,3,3,3] row_mask:0xf bank_mask:0xf// 0000000103C4: 0B1716FA FF00FFFA
	v_mul_f32_dpp v140, v251, v140 quad_perm:[0,0,0,0] row_mask:0xf bank_mask:0xf// 0000000103CC: 0B1918FA FF0000FB
	v_mul_f32_dpp v141, v251, v141 quad_perm:[1,1,1,1] row_mask:0xf bank_mask:0xf// 0000000103D4: 0B1B1AFA FF0055FB
	v_mul_f32_dpp v142, v251, v142 quad_perm:[2,2,2,2] row_mask:0xf bank_mask:0xf// 0000000103DC: 0B1D1CFA FF00AAFB
	v_mul_f32_dpp v143, v251, v143 quad_perm:[3,3,3,3] row_mask:0xf bank_mask:0xf// 0000000103E4: 0B1F1EFA FF00FFFB
	v_mov_b32_e32 v48, v128                                    // 0000000103EC: 7E600380
	v_max3_f32 v48, v128, v129, v48                            // 0000000103F0: D1D30030 04C30380
	v_max3_f32 v48, v130, v131, v48                            // 0000000103F8: D1D30030 04C30782
	v_max3_f32 v48, v132, v133, v48                            // 000000010400: D1D30030 04C30B84
	v_max3_f32 v48, v134, v135, v48                            // 000000010408: D1D30030 04C30F86
	v_max3_f32 v48, v136, v137, v48                            // 000000010410: D1D30030 04C31388
	v_max3_f32 v48, v138, v139, v48                            // 000000010418: D1D30030 04C3178A
	v_max3_f32 v48, v140, v141, v48                            // 000000010420: D1D30030 04C31B8C
	v_max3_f32 v48, v142, v143, v48                            // 000000010428: D1D30030 04C31F8E
	ds_write_b32 v8, v48 offset:16896                          // 000000010430: D81A4200 00003008
	v_mul_f32_e32 v216, v50, v216                              // 000000010438: 0BB1B132
	v_mul_f32_e32 v217, v50, v217                              // 00000001043C: 0BB3B332
	v_mul_f32_e32 v218, v50, v218                              // 000000010440: 0BB5B532
	v_mul_f32_e32 v219, v50, v219                              // 000000010444: 0BB7B732
	v_mul_f32_e32 v220, v50, v220                              // 000000010448: 0BB9B932
	v_mul_f32_e32 v221, v50, v221                              // 00000001044C: 0BBBBB32
	v_mul_f32_e32 v222, v50, v222                              // 000000010450: 0BBDBD32
	v_mul_f32_e32 v223, v50, v223                              // 000000010454: 0BBFBF32
	s_waitcnt lgkmcnt(0)                                       // 000000010458: BF8CC07F
	s_barrier                                                  // 00000001045C: BF8A0000
	ds_read_b32 v64, v7 offset:16896                           // 000000010460: D86C4200 40000007
	ds_read_b32 v65, v7 offset:16960                           // 000000010468: D86C4240 41000007
	ds_read_b32 v66, v7 offset:17024                           // 000000010470: D86C4280 42000007
	ds_read_b32 v67, v7 offset:17088                           // 000000010478: D86C42C0 43000007
	ds_read_b32 v68, v7 offset:17152                           // 000000010480: D86C4300 44000007
	ds_read_b32 v69, v7 offset:17216                           // 000000010488: D86C4340 45000007
	ds_read_b32 v70, v7 offset:17280                           // 000000010490: D86C4380 46000007
	ds_read_b32 v71, v7 offset:17344                           // 000000010498: D86C43C0 47000007
	ds_read_b32 v72, v7 offset:17408                           // 0000000104A0: D86C4400 48000007
	ds_read_b32 v73, v7 offset:17472                           // 0000000104A8: D86C4440 49000007
	ds_read_b32 v74, v7 offset:17536                           // 0000000104B0: D86C4480 4A000007
	ds_read_b32 v75, v7 offset:17600                           // 0000000104B8: D86C44C0 4B000007
	ds_read_b32 v76, v7 offset:17664                           // 0000000104C0: D86C4500 4C000007
	ds_read_b32 v77, v7 offset:17728                           // 0000000104C8: D86C4540 4D000007
	ds_read_b32 v78, v7 offset:17792                           // 0000000104D0: D86C4580 4E000007
	ds_read_b32 v79, v7 offset:17856                           // 0000000104D8: D86C45C0 4F000007
	v_cvt_f32_i32_e32 v184, v184                               // 0000000104E0: 7F700BB8
	v_cvt_f32_i32_e32 v185, v185                               // 0000000104E4: 7F720BB9
	v_cvt_f32_i32_e32 v186, v186                               // 0000000104E8: 7F740BBA
	v_cvt_f32_i32_e32 v187, v187                               // 0000000104EC: 7F760BBB
	v_cvt_f32_i32_e32 v188, v188                               // 0000000104F0: 7F780BBC
	v_cvt_f32_i32_e32 v189, v189                               // 0000000104F4: 7F7A0BBD
	v_cvt_f32_i32_e32 v190, v190                               // 0000000104F8: 7F7C0BBE
	v_cvt_f32_i32_e32 v191, v191                               // 0000000104FC: 7F7E0BBF
	v_mul_f32_e32 v184, v45, v184                              // 000000010500: 0B71712D
	v_mul_f32_e32 v185, v45, v185                              // 000000010504: 0B73732D
	v_mul_f32_e32 v186, v45, v186                              // 000000010508: 0B75752D
	v_mul_f32_e32 v187, v45, v187                              // 00000001050C: 0B77772D
	v_mul_f32_e32 v188, v45, v188                              // 000000010510: 0B79792D
	v_mul_f32_e32 v189, v45, v189                              // 000000010514: 0B7B7B2D
	v_mul_f32_e32 v190, v45, v190                              // 000000010518: 0B7D7D2D
	v_mul_f32_e32 v191, v45, v191                              // 00000001051C: 0B7F7F2D
	s_waitcnt lgkmcnt(0)                                       // 000000010520: BF8CC07F
	v_max3_f32 v48, v64, v65, v48                              // 000000010524: D1D30030 04C28340
	v_max3_f32 v48, v66, v67, v48                              // 00000001052C: D1D30030 04C28742
	v_max3_f32 v48, v68, v69, v48                              // 000000010534: D1D30030 04C28B44
	v_max3_f32 v48, v70, v71, v48                              // 00000001053C: D1D30030 04C28F46
	v_max3_f32 v48, v72, v73, v48                              // 000000010544: D1D30030 04C29348
	v_max3_f32 v48, v74, v75, v48                              // 00000001054C: D1D30030 04C2974A
	v_max3_f32 v48, v76, v77, v48                              // 000000010554: D1D30030 04C29B4C
	v_max3_f32 v48, v78, v79, v48                              // 00000001055C: D1D30030 04C29F4E
	v_mov_b32_e32 v64, 0xff800000                              // 000000010564: 7E8002FF FF800000
	v_cmp_eq_u32_e64 s[40:41], v64, v12                        // 00000001056C: D0CA0028 00021940
	s_nop 1                                                    // 000000010574: BF800001
	v_max_f32_e32 v15, v48, v12                                // 000000010578: 161E1930
	v_mul_f32_e32 v53, s64, v15                                // 00000001057C: 0A6A1E40
	v_fma_f32 v128, v128, s64, -v53                            // 000000010580: D1CB0080 84D48180
	v_fma_f32 v129, v129, s64, -v53                            // 000000010588: D1CB0081 84D48181
	v_fma_f32 v130, v130, s64, -v53                            // 000000010590: D1CB0082 84D48182
	v_fma_f32 v131, v131, s64, -v53                            // 000000010598: D1CB0083 84D48183
	v_fma_f32 v132, v132, s64, -v53                            // 0000000105A0: D1CB0084 84D48184
	v_fma_f32 v133, v133, s64, -v53                            // 0000000105A8: D1CB0085 84D48185
	v_fma_f32 v134, v134, s64, -v53                            // 0000000105B0: D1CB0086 84D48186
	v_fma_f32 v135, v135, s64, -v53                            // 0000000105B8: D1CB0087 84D48187
	v_fma_f32 v136, v136, s64, -v53                            // 0000000105C0: D1CB0088 84D48188
	v_fma_f32 v137, v137, s64, -v53                            // 0000000105C8: D1CB0089 84D48189
	v_fma_f32 v138, v138, s64, -v53                            // 0000000105D0: D1CB008A 84D4818A
	v_fma_f32 v139, v139, s64, -v53                            // 0000000105D8: D1CB008B 84D4818B
	v_fma_f32 v140, v140, s64, -v53                            // 0000000105E0: D1CB008C 84D4818C
	v_fma_f32 v141, v141, s64, -v53                            // 0000000105E8: D1CB008D 84D4818D
	v_fma_f32 v142, v142, s64, -v53                            // 0000000105F0: D1CB008E 84D4818E
	v_fma_f32 v143, v143, s64, -v53                            // 0000000105F8: D1CB008F 84D4818F
	v_exp_f32_e32 v128, v128                                   // 000000010600: 7F004180
	v_exp_f32_e32 v129, v129                                   // 000000010604: 7F024181
	v_exp_f32_e32 v130, v130                                   // 000000010608: 7F044182
	v_exp_f32_e32 v131, v131                                   // 00000001060C: 7F064183
	v_exp_f32_e32 v132, v132                                   // 000000010610: 7F084184
	v_exp_f32_e32 v133, v133                                   // 000000010614: 7F0A4185
	v_exp_f32_e32 v134, v134                                   // 000000010618: 7F0C4186
	v_exp_f32_e32 v135, v135                                   // 00000001061C: 7F0E4187
	v_exp_f32_e32 v136, v136                                   // 000000010620: 7F104188
	v_exp_f32_e32 v137, v137                                   // 000000010624: 7F124189
	v_exp_f32_e32 v138, v138                                   // 000000010628: 7F14418A
	v_exp_f32_e32 v139, v139                                   // 00000001062C: 7F16418B
	v_exp_f32_e32 v140, v140                                   // 000000010630: 7F18418C
	v_exp_f32_e32 v141, v141                                   // 000000010634: 7F1A418D
	v_exp_f32_e32 v142, v142                                   // 000000010638: 7F1C418E
	v_exp_f32_e32 v143, v143                                   // 00000001063C: 7F1E418F
	v_mul_f32_dpp v240, v252, v128 quad_perm:[0,0,0,0] row_mask:0xf bank_mask:0xf// 000000010640: 0BE100FA FF0000FC
	v_mul_f32_dpp v241, v252, v129 quad_perm:[1,1,1,1] row_mask:0xf bank_mask:0xf// 000000010648: 0BE302FA FF0055FC
	v_mul_f32_dpp v242, v252, v130 quad_perm:[2,2,2,2] row_mask:0xf bank_mask:0xf// 000000010650: 0BE504FA FF00AAFC
	v_mul_f32_dpp v243, v252, v131 quad_perm:[3,3,3,3] row_mask:0xf bank_mask:0xf// 000000010658: 0BE706FA FF00FFFC
	v_mul_f32_dpp v244, v253, v132 quad_perm:[0,0,0,0] row_mask:0xf bank_mask:0xf// 000000010660: 0BE908FA FF0000FD
	v_mul_f32_dpp v245, v253, v133 quad_perm:[1,1,1,1] row_mask:0xf bank_mask:0xf// 000000010668: 0BEB0AFA FF0055FD
	v_mul_f32_dpp v246, v253, v134 quad_perm:[2,2,2,2] row_mask:0xf bank_mask:0xf// 000000010670: 0BED0CFA FF00AAFD
	v_mul_f32_dpp v247, v253, v135 quad_perm:[3,3,3,3] row_mask:0xf bank_mask:0xf// 000000010678: 0BEF0EFA FF00FFFD
	v_mul_f32_dpp v248, v254, v136 quad_perm:[0,0,0,0] row_mask:0xf bank_mask:0xf// 000000010680: 0BF110FA FF0000FE
	v_mul_f32_dpp v249, v254, v137 quad_perm:[1,1,1,1] row_mask:0xf bank_mask:0xf// 000000010688: 0BF312FA FF0055FE
	v_mul_f32_dpp v250, v254, v138 quad_perm:[2,2,2,2] row_mask:0xf bank_mask:0xf// 000000010690: 0BF514FA FF00AAFE
	v_mul_f32_dpp v251, v254, v139 quad_perm:[3,3,3,3] row_mask:0xf bank_mask:0xf// 000000010698: 0BF716FA FF00FFFE
	v_mul_f32_dpp v252, v255, v140 quad_perm:[0,0,0,0] row_mask:0xf bank_mask:0xf// 0000000106A0: 0BF918FA FF0000FF
	v_mul_f32_dpp v253, v255, v141 quad_perm:[1,1,1,1] row_mask:0xf bank_mask:0xf// 0000000106A8: 0BFB1AFA FF0055FF
	v_mul_f32_dpp v254, v255, v142 quad_perm:[2,2,2,2] row_mask:0xf bank_mask:0xf// 0000000106B0: 0BFD1CFA FF00AAFF
	v_mul_f32_dpp v255, v255, v143 quad_perm:[3,3,3,3] row_mask:0xf bank_mask:0xf// 0000000106B8: 0BFF1EFA FF00FFFF
	v_mov_b32_e32 v48, 0x358637bd                              // 0000000106C0: 7E6002FF 358637BD
	v_max3_f32 v48, |v240|, |v241|, v48                        // 0000000106C8: D1D30330 04C3E3F0
	v_max3_f32 v48, |v242|, |v243|, v48                        // 0000000106D0: D1D30330 04C3E7F2
	v_max3_f32 v48, |v244|, |v245|, v48                        // 0000000106D8: D1D30330 04C3EBF4
	v_max3_f32 v48, |v246|, |v247|, v48                        // 0000000106E0: D1D30330 04C3EFF6
	v_max3_f32 v48, |v248|, |v249|, v48                        // 0000000106E8: D1D30330 04C3F3F8
	v_max3_f32 v48, |v250|, |v251|, v48                        // 0000000106F0: D1D30330 04C3F7FA
	v_max3_f32 v48, |v252|, |v253|, v48                        // 0000000106F8: D1D30330 04C3FBFC
	v_max3_f32 v48, |v254|, |v255|, v48                        // 000000010700: D1D30330 04C3FFFE
	ds_write_b32 v8, v48 offset:20992                          // 000000010708: D81A5200 00003008
	v_sub_f32_e32 v50, v12, v15                                // 000000010710: 04641F0C
	v_cndmask_b32_e64 v50, v50, 0, s[40:41]                    // 000000010714: D1000032 00A10132
	v_mov_b32_e32 v12, v15                                     // 00000001071C: 7E18030F
	v_mul_f32_e32 v50, s64, v50                                // 000000010720: 0A646440
	v_exp_f32_e32 v50, v50                                     // 000000010724: 7E644132
	s_waitcnt lgkmcnt(0)                                       // 000000010728: BF8CC07F
	s_barrier                                                  // 00000001072C: BF8A0000
	ds_read_b32 v64, v7 offset:20992                           // 000000010730: D86C5200 40000007
	ds_read_b32 v65, v7 offset:21056                           // 000000010738: D86C5240 41000007
	ds_read_b32 v66, v7 offset:21120                           // 000000010740: D86C5280 42000007
	ds_read_b32 v67, v7 offset:21184                           // 000000010748: D86C52C0 43000007
	ds_read_b32 v68, v7 offset:21248                           // 000000010750: D86C5300 44000007
	ds_read_b32 v69, v7 offset:21312                           // 000000010758: D86C5340 45000007
	ds_read_b32 v70, v7 offset:21376                           // 000000010760: D86C5380 46000007
	ds_read_b32 v71, v7 offset:21440                           // 000000010768: D86C53C0 47000007
	ds_read_b32 v72, v7 offset:21504                           // 000000010770: D86C5400 48000007
	ds_read_b32 v73, v7 offset:21568                           // 000000010778: D86C5440 49000007
	ds_read_b32 v74, v7 offset:21632                           // 000000010780: D86C5480 4A000007
	ds_read_b32 v75, v7 offset:21696                           // 000000010788: D86C54C0 4B000007
	ds_read_b32 v76, v7 offset:21760                           // 000000010790: D86C5500 4C000007
	ds_read_b32 v77, v7 offset:21824                           // 000000010798: D86C5540 4D000007
	ds_read_b32 v78, v7 offset:21888                           // 0000000107A0: D86C5580 4E000007
	ds_read_b32 v79, v7 offset:21952                           // 0000000107A8: D86C55C0 4F000007
	v_mul_f32_e32 v39, v50, v39                                // 0000000107B0: 0A4E4F32
	v_mov_b32_e32 v15, v128                                    // 0000000107B4: 7E1E0380
	v_add_f32_e32 v15, v129, v15                               // 0000000107B8: 021E1F81
	v_add_f32_e32 v15, v130, v15                               // 0000000107BC: 021E1F82
	v_add_f32_e32 v15, v131, v15                               // 0000000107C0: 021E1F83
	v_add_f32_e32 v15, v132, v15                               // 0000000107C4: 021E1F84
	v_add_f32_e32 v15, v133, v15                               // 0000000107C8: 021E1F85
	v_add_f32_e32 v15, v134, v15                               // 0000000107CC: 021E1F86
	v_add_f32_e32 v15, v135, v15                               // 0000000107D0: 021E1F87
	v_add_f32_e32 v15, v136, v15                               // 0000000107D4: 021E1F88
	v_add_f32_e32 v15, v137, v15                               // 0000000107D8: 021E1F89
	v_add_f32_e32 v15, v138, v15                               // 0000000107DC: 021E1F8A
	v_add_f32_e32 v15, v139, v15                               // 0000000107E0: 021E1F8B
	v_add_f32_e32 v15, v140, v15                               // 0000000107E4: 021E1F8C
	v_add_f32_e32 v15, v141, v15                               // 0000000107E8: 021E1F8D
	v_add_f32_e32 v15, v142, v15                               // 0000000107EC: 021E1F8E
	v_add_f32_e32 v15, v143, v15                               // 0000000107F0: 021E1F8F
	v_add_f32_e32 v39, v15, v39                                // 0000000107F4: 024E4F0F
	s_waitcnt lgkmcnt(0)                                       // 0000000107F8: BF8CC07F
	v_max3_f32 v48, |v64|, |v65|, v48                          // 0000000107FC: D1D30330 04C28340
	v_max3_f32 v48, |v66|, |v67|, v48                          // 000000010804: D1D30330 04C28742
	v_max3_f32 v48, |v68|, |v69|, v48                          // 00000001080C: D1D30330 04C28B44
	v_max3_f32 v48, |v70|, |v71|, v48                          // 000000010814: D1D30330 04C28F46
	v_max3_f32 v48, |v72|, |v73|, v48                          // 00000001081C: D1D30330 04C29348
	v_max3_f32 v48, |v74|, |v75|, v48                          // 000000010824: D1D30330 04C2974A
	v_max3_f32 v48, |v76|, |v77|, v48                          // 00000001082C: D1D30330 04C29B4C
	v_max3_f32 v48, |v78|, |v79|, v48                          // 000000010834: D1D30330 04C29F4E
	s_nop 2                                                    // 00000001083C: BF800002
	v_rcp_f32_e32 v48, v48                                     // 000000010840: 7E604530
	s_nop 1                                                    // 000000010844: BF800001
	v_mul_f32_e32 v48, 0x42fe0000, v48                         // 000000010848: 0A6060FF 42FE0000
	v_mul_f32_e32 v128, v48, v240                              // 000000010850: 0B01E130
	v_mul_f32_e32 v129, v48, v241                              // 000000010854: 0B03E330
	v_mul_f32_e32 v130, v48, v242                              // 000000010858: 0B05E530
	v_mul_f32_e32 v131, v48, v243                              // 00000001085C: 0B07E730
	v_mul_f32_e32 v132, v48, v244                              // 000000010860: 0B09E930
	v_mul_f32_e32 v133, v48, v245                              // 000000010864: 0B0BEB30
	v_mul_f32_e32 v134, v48, v246                              // 000000010868: 0B0DED30
	v_mul_f32_e32 v135, v48, v247                              // 00000001086C: 0B0FEF30
	v_mul_f32_e32 v136, v48, v248                              // 000000010870: 0B11F130
	v_mul_f32_e32 v137, v48, v249                              // 000000010874: 0B13F330
	v_mul_f32_e32 v138, v48, v250                              // 000000010878: 0B15F530
	v_mul_f32_e32 v139, v48, v251                              // 00000001087C: 0B17F730
	v_mul_f32_e32 v140, v48, v252                              // 000000010880: 0B19F930
	v_mul_f32_e32 v141, v48, v253                              // 000000010884: 0B1BFB30
	v_mul_f32_e32 v142, v48, v254                              // 000000010888: 0B1DFD30
	v_mul_f32_e32 v143, v48, v255                              // 00000001088C: 0B1FFF30
	v_cvt_i32_f32_e32 v128, v128                               // 000000010890: 7F001180
	v_cvt_i32_f32_e32 v129, v129                               // 000000010894: 7F021181
	v_cvt_i32_f32_e32 v130, v130                               // 000000010898: 7F041182
	v_cvt_i32_f32_e32 v131, v131                               // 00000001089C: 7F061183
	v_cvt_i32_f32_e32 v132, v132                               // 0000000108A0: 7F081184
	v_cvt_i32_f32_e32 v133, v133                               // 0000000108A4: 7F0A1185
	v_cvt_i32_f32_e32 v134, v134                               // 0000000108A8: 7F0C1186
	v_cvt_i32_f32_e32 v135, v135                               // 0000000108AC: 7F0E1187
	v_cvt_i32_f32_e32 v136, v136                               // 0000000108B0: 7F101188
	v_cvt_i32_f32_e32 v137, v137                               // 0000000108B4: 7F121189
	v_cvt_i32_f32_e32 v138, v138                               // 0000000108B8: 7F14118A
	v_cvt_i32_f32_e32 v139, v139                               // 0000000108BC: 7F16118B
	v_cvt_i32_f32_e32 v140, v140                               // 0000000108C0: 7F18118C
	v_cvt_i32_f32_e32 v141, v141                               // 0000000108C4: 7F1A118D
	v_cvt_i32_f32_e32 v142, v142                               // 0000000108C8: 7F1C118E
	v_cvt_i32_f32_e32 v143, v143                               // 0000000108CC: 7F1E118F
	v_perm_b32 v128, v129, v128, s53                           // 0000000108D0: D1ED0080 00D70181
	v_perm_b32 v128, v130, v128, s54                           // 0000000108D8: D1ED0080 00DB0182
	v_perm_b32 v128, v131, v128, s55                           // 0000000108E0: D1ED0080 00DF0183
	v_perm_b32 v129, v133, v132, s53                           // 0000000108E8: D1ED0081 00D70985
	v_perm_b32 v129, v134, v129, s54                           // 0000000108F0: D1ED0081 00DB0386
	v_perm_b32 v129, v135, v129, s55                           // 0000000108F8: D1ED0081 00DF0387
	v_perm_b32 v130, v137, v136, s53                           // 000000010900: D1ED0082 00D71189
	v_perm_b32 v130, v138, v130, s54                           // 000000010908: D1ED0082 00DB058A
	v_perm_b32 v130, v139, v130, s55                           // 000000010910: D1ED0082 00DF058B
	v_perm_b32 v131, v141, v140, s53                           // 000000010918: D1ED0083 00D7198D
	v_perm_b32 v131, v142, v131, s54                           // 000000010920: D1ED0083 00DB078E
	v_perm_b32 v131, v143, v131, s55                           // 000000010928: D1ED0083 00DF078F
	ds_write_b32 v10, v128 offset:29184                        // 000000010930: D81A7200 0000800A
	ds_write_b32 v10, v129 offset:30208                        // 000000010938: D81A7600 0000810A
	ds_write_b32 v10, v130 offset:31232                        // 000000010940: D81A7A00 0000820A
	ds_write_b32 v10, v131 offset:32256                        // 000000010948: D81A7E00 0000830A
	v_add_f32_e32 v216, v216, v184                             // 000000010950: 03B171D8
	v_add_f32_e32 v217, v217, v185                             // 000000010954: 03B373D9
	v_add_f32_e32 v218, v218, v186                             // 000000010958: 03B575DA
	v_add_f32_e32 v219, v219, v187                             // 00000001095C: 03B777DB
	v_add_f32_e32 v220, v220, v188                             // 000000010960: 03B979DC
	v_add_f32_e32 v221, v221, v189                             // 000000010964: 03BB7BDD
	v_add_f32_e32 v222, v222, v190                             // 000000010968: 03BD7DDE
	v_add_f32_e32 v223, v223, v191                             // 00000001096C: 03BF7FDF
	v_rcp_f32_e32 v45, v48                                     // 000000010970: 7E5A4530
	s_waitcnt lgkmcnt(0)                                       // 000000010974: BF8CC07F
	s_barrier                                                  // 000000010978: BF8A0000
	ds_read_b64 v[128:129], v9 offset:29184                    // 00000001097C: D8EC7200 80000009
	ds_read_b64 v[130:131], v9 offset:29312                    // 000000010984: D8EC7280 82000009
	ds_read_b64 v[132:133], v9 offset:30208                    // 00000001098C: D8EC7600 84000009
	ds_read_b64 v[134:135], v9 offset:30336                    // 000000010994: D8EC7680 86000009
	ds_read_b64 v[136:137], v9 offset:31232                    // 00000001099C: D8EC7A00 88000009
	ds_read_b64 v[138:139], v9 offset:31360                    // 0000000109A4: D8EC7A80 8A000009
	ds_read_b64 v[140:141], v9 offset:32256                    // 0000000109AC: D8EC7E00 8C000009
	ds_read_b64 v[142:143], v9 offset:32384                    // 0000000109B4: D8EC7E80 8E000009
	v_mov_b32_dpp v64, v42 row_shr:4 row_mask:0xf bank_mask:0xf// 0000000109BC: 7E8002FA FF01142A
	v_mov_b32_dpp v65, v42 row_shl:4 row_mask:0xf bank_mask:0xf// 0000000109C4: 7E8202FA FF01042A
	v_cndmask_b32_e64 v248, v42, v64, s[44:45]                 // 0000000109CC: D10000F8 00B2812A
	v_cndmask_b32_e64 v249, v65, v42, s[44:45]                 // 0000000109D4: D10000F9 00B25541
	v_mov_b32_dpp v64, v248 row_shr:8 row_mask:0xf bank_mask:0xf// 0000000109DC: 7E8002FA FF0118F8
	v_mov_b32_dpp v65, v248 row_shl:8 row_mask:0xf bank_mask:0xf// 0000000109E4: 7E8202FA FF0108F8
	v_mov_b32_dpp v66, v249 row_shr:8 row_mask:0xf bank_mask:0xf// 0000000109EC: 7E8402FA FF0118F9
	v_mov_b32_dpp v67, v249 row_shl:8 row_mask:0xf bank_mask:0xf// 0000000109F4: 7E8602FA FF0108F9
	v_mov_b32_e32 v68, v248                                    // 0000000109FC: 7E8803F8
	v_mov_b32_e32 v69, v249                                    // 000000010A00: 7E8A03F9
	v_cndmask_b32_e64 v248, v68, v64, s[42:43]                 // 000000010A04: D10000F8 00AA8144
	v_cndmask_b32_e64 v250, v68, v65, s[78:79]                 // 000000010A0C: D10000FA 013A8344
	v_cndmask_b32_e64 v249, v69, v66, s[42:43]                 // 000000010A14: D10000F9 00AA8545
	v_cndmask_b32_e64 v251, v69, v67, s[78:79]                 // 000000010A1C: D10000FB 013A8745
	v_mov_b32_dpp v64, v57 row_shr:4 row_mask:0xf bank_mask:0xf// 000000010A24: 7E8002FA FF011439
	v_mov_b32_dpp v65, v57 row_shl:4 row_mask:0xf bank_mask:0xf// 000000010A2C: 7E8202FA FF010439
	v_cndmask_b32_e64 v252, v57, v64, s[44:45]                 // 000000010A34: D10000FC 00B28139
	v_cndmask_b32_e64 v253, v65, v57, s[44:45]                 // 000000010A3C: D10000FD 00B27341
	v_mov_b32_dpp v64, v252 row_shr:8 row_mask:0xf bank_mask:0xf// 000000010A44: 7E8002FA FF0118FC
	v_mov_b32_dpp v65, v252 row_shl:8 row_mask:0xf bank_mask:0xf// 000000010A4C: 7E8202FA FF0108FC
	v_mov_b32_dpp v66, v253 row_shr:8 row_mask:0xf bank_mask:0xf// 000000010A54: 7E8402FA FF0118FD
	v_mov_b32_dpp v67, v253 row_shl:8 row_mask:0xf bank_mask:0xf// 000000010A5C: 7E8602FA FF0108FD
	v_mov_b32_e32 v68, v252                                    // 000000010A64: 7E8803FC
	v_mov_b32_e32 v69, v253                                    // 000000010A68: 7E8A03FD
	v_cndmask_b32_e64 v252, v68, v64, s[42:43]                 // 000000010A6C: D10000FC 00AA8144
	v_cndmask_b32_e64 v254, v68, v65, s[78:79]                 // 000000010A74: D10000FE 013A8344
	v_cndmask_b32_e64 v253, v69, v66, s[42:43]                 // 000000010A7C: D10000FD 00AA8545
	v_cndmask_b32_e64 v255, v69, v67, s[78:79]                 // 000000010A84: D10000FF 013A8745
	v_cvt_f32_i32_e32 v144, v144                               // 000000010A8C: 7F200B90
	v_cvt_f32_i32_e32 v145, v145                               // 000000010A90: 7F220B91
	v_cvt_f32_i32_e32 v146, v146                               // 000000010A94: 7F240B92
	v_cvt_f32_i32_e32 v147, v147                               // 000000010A98: 7F260B93
	v_cvt_f32_i32_e32 v148, v148                               // 000000010A9C: 7F280B94
	v_cvt_f32_i32_e32 v149, v149                               // 000000010AA0: 7F2A0B95
	v_cvt_f32_i32_e32 v150, v150                               // 000000010AA4: 7F2C0B96
	v_cvt_f32_i32_e32 v151, v151                               // 000000010AA8: 7F2E0B97
	v_cvt_f32_i32_e32 v152, v152                               // 000000010AAC: 7F300B98
	v_cvt_f32_i32_e32 v153, v153                               // 000000010AB0: 7F320B99
	v_cvt_f32_i32_e32 v154, v154                               // 000000010AB4: 7F340B9A
	v_cvt_f32_i32_e32 v155, v155                               // 000000010AB8: 7F360B9B
	v_cvt_f32_i32_e32 v156, v156                               // 000000010ABC: 7F380B9C
	v_cvt_f32_i32_e32 v157, v157                               // 000000010AC0: 7F3A0B9D
	v_cvt_f32_i32_e32 v158, v158                               // 000000010AC4: 7F3C0B9E
	v_cvt_f32_i32_e32 v159, v159                               // 000000010AC8: 7F3E0B9F
	v_mul_f32_e32 v144, v20, v144                              // 000000010ACC: 0B212114
	v_mul_f32_e32 v145, v20, v145                              // 000000010AD0: 0B232314
	v_mul_f32_e32 v146, v20, v146                              // 000000010AD4: 0B252514
	v_mul_f32_e32 v147, v20, v147                              // 000000010AD8: 0B272714
	v_mul_f32_e32 v148, v20, v148                              // 000000010ADC: 0B292914
	v_mul_f32_e32 v149, v20, v149                              // 000000010AE0: 0B2B2B14
	v_mul_f32_e32 v150, v20, v150                              // 000000010AE4: 0B2D2D14
	v_mul_f32_e32 v151, v20, v151                              // 000000010AE8: 0B2F2F14
	v_mul_f32_e32 v152, v20, v152                              // 000000010AEC: 0B313114
	v_mul_f32_e32 v153, v20, v153                              // 000000010AF0: 0B333314
	v_mul_f32_e32 v154, v20, v154                              // 000000010AF4: 0B353514
	v_mul_f32_e32 v155, v20, v155                              // 000000010AF8: 0B373714
	v_mul_f32_e32 v156, v20, v156                              // 000000010AFC: 0B393914
	v_mul_f32_e32 v157, v20, v157                              // 000000010B00: 0B3B3B14
	v_mul_f32_e32 v158, v20, v158                              // 000000010B04: 0B3D3D14
	v_mul_f32_e32 v159, v20, v159                              // 000000010B08: 0B3F3F14
	v_mul_f32_dpp v144, v248, v144 quad_perm:[0,0,0,0] row_mask:0xf bank_mask:0xf// 000000010B0C: 0B2120FA FF0000F8
	v_mul_f32_dpp v145, v248, v145 quad_perm:[1,1,1,1] row_mask:0xf bank_mask:0xf// 000000010B14: 0B2322FA FF0055F8
	v_mul_f32_dpp v146, v248, v146 quad_perm:[2,2,2,2] row_mask:0xf bank_mask:0xf// 000000010B1C: 0B2524FA FF00AAF8
	v_mul_f32_dpp v147, v248, v147 quad_perm:[3,3,3,3] row_mask:0xf bank_mask:0xf// 000000010B24: 0B2726FA FF00FFF8
	v_mul_f32_dpp v148, v249, v148 quad_perm:[0,0,0,0] row_mask:0xf bank_mask:0xf// 000000010B2C: 0B2928FA FF0000F9
	v_mul_f32_dpp v149, v249, v149 quad_perm:[1,1,1,1] row_mask:0xf bank_mask:0xf// 000000010B34: 0B2B2AFA FF0055F9
	v_mul_f32_dpp v150, v249, v150 quad_perm:[2,2,2,2] row_mask:0xf bank_mask:0xf// 000000010B3C: 0B2D2CFA FF00AAF9
	v_mul_f32_dpp v151, v249, v151 quad_perm:[3,3,3,3] row_mask:0xf bank_mask:0xf// 000000010B44: 0B2F2EFA FF00FFF9
	v_mul_f32_dpp v152, v250, v152 quad_perm:[0,0,0,0] row_mask:0xf bank_mask:0xf// 000000010B4C: 0B3130FA FF0000FA
	v_mul_f32_dpp v153, v250, v153 quad_perm:[1,1,1,1] row_mask:0xf bank_mask:0xf// 000000010B54: 0B3332FA FF0055FA
	v_mul_f32_dpp v154, v250, v154 quad_perm:[2,2,2,2] row_mask:0xf bank_mask:0xf// 000000010B5C: 0B3534FA FF00AAFA
	v_mul_f32_dpp v155, v250, v155 quad_perm:[3,3,3,3] row_mask:0xf bank_mask:0xf// 000000010B64: 0B3736FA FF00FFFA
	v_mul_f32_dpp v156, v251, v156 quad_perm:[0,0,0,0] row_mask:0xf bank_mask:0xf// 000000010B6C: 0B3938FA FF0000FB
	v_mul_f32_dpp v157, v251, v157 quad_perm:[1,1,1,1] row_mask:0xf bank_mask:0xf// 000000010B74: 0B3B3AFA FF0055FB
	v_mul_f32_dpp v158, v251, v158 quad_perm:[2,2,2,2] row_mask:0xf bank_mask:0xf// 000000010B7C: 0B3D3CFA FF00AAFB
	v_mul_f32_dpp v159, v251, v159 quad_perm:[3,3,3,3] row_mask:0xf bank_mask:0xf// 000000010B84: 0B3F3EFA FF00FFFB
	v_mov_b32_e32 v48, v144                                    // 000000010B8C: 7E600390
	v_max3_f32 v48, v144, v145, v48                            // 000000010B90: D1D30030 04C32390
	v_max3_f32 v48, v146, v147, v48                            // 000000010B98: D1D30030 04C32792
	v_max3_f32 v48, v148, v149, v48                            // 000000010BA0: D1D30030 04C32B94
	v_max3_f32 v48, v150, v151, v48                            // 000000010BA8: D1D30030 04C32F96
	v_max3_f32 v48, v152, v153, v48                            // 000000010BB0: D1D30030 04C33398
	v_max3_f32 v48, v154, v155, v48                            // 000000010BB8: D1D30030 04C3379A
	v_max3_f32 v48, v156, v157, v48                            // 000000010BC0: D1D30030 04C33B9C
	v_max3_f32 v48, v158, v159, v48                            // 000000010BC8: D1D30030 04C33F9E
	ds_write_b32 v8, v48 offset:16896                          // 000000010BD0: D81A4200 00003008
	v_mul_f32_e32 v224, v51, v224                              // 000000010BD8: 0BC1C133
	v_mul_f32_e32 v225, v51, v225                              // 000000010BDC: 0BC3C333
	v_mul_f32_e32 v226, v51, v226                              // 000000010BE0: 0BC5C533
	v_mul_f32_e32 v227, v51, v227                              // 000000010BE4: 0BC7C733
	v_mul_f32_e32 v228, v51, v228                              // 000000010BE8: 0BC9C933
	v_mul_f32_e32 v229, v51, v229                              // 000000010BEC: 0BCBCB33
	v_mul_f32_e32 v230, v51, v230                              // 000000010BF0: 0BCDCD33
	v_mul_f32_e32 v231, v51, v231                              // 000000010BF4: 0BCFCF33
	s_waitcnt lgkmcnt(0)                                       // 000000010BF8: BF8CC07F
	s_barrier                                                  // 000000010BFC: BF8A0000
	ds_read_b32 v64, v7 offset:16896                           // 000000010C00: D86C4200 40000007
	ds_read_b32 v65, v7 offset:16960                           // 000000010C08: D86C4240 41000007
	ds_read_b32 v66, v7 offset:17024                           // 000000010C10: D86C4280 42000007
	ds_read_b32 v67, v7 offset:17088                           // 000000010C18: D86C42C0 43000007
	ds_read_b32 v68, v7 offset:17152                           // 000000010C20: D86C4300 44000007
	ds_read_b32 v69, v7 offset:17216                           // 000000010C28: D86C4340 45000007
	ds_read_b32 v70, v7 offset:17280                           // 000000010C30: D86C4380 46000007
	ds_read_b32 v71, v7 offset:17344                           // 000000010C38: D86C43C0 47000007
	ds_read_b32 v72, v7 offset:17408                           // 000000010C40: D86C4400 48000007
	ds_read_b32 v73, v7 offset:17472                           // 000000010C48: D86C4440 49000007
	ds_read_b32 v74, v7 offset:17536                           // 000000010C50: D86C4480 4A000007
	ds_read_b32 v75, v7 offset:17600                           // 000000010C58: D86C44C0 4B000007
	ds_read_b32 v76, v7 offset:17664                           // 000000010C60: D86C4500 4C000007
	ds_read_b32 v77, v7 offset:17728                           // 000000010C68: D86C4540 4D000007
	ds_read_b32 v78, v7 offset:17792                           // 000000010C70: D86C4580 4E000007
	ds_read_b32 v79, v7 offset:17856                           // 000000010C78: D86C45C0 4F000007
	v_cvt_f32_i32_e32 v192, v192                               // 000000010C80: 7F800BC0
	v_cvt_f32_i32_e32 v193, v193                               // 000000010C84: 7F820BC1
	v_cvt_f32_i32_e32 v194, v194                               // 000000010C88: 7F840BC2
	v_cvt_f32_i32_e32 v195, v195                               // 000000010C8C: 7F860BC3
	v_cvt_f32_i32_e32 v196, v196                               // 000000010C90: 7F880BC4
	v_cvt_f32_i32_e32 v197, v197                               // 000000010C94: 7F8A0BC5
	v_cvt_f32_i32_e32 v198, v198                               // 000000010C98: 7F8C0BC6
	v_cvt_f32_i32_e32 v199, v199                               // 000000010C9C: 7F8E0BC7
	v_mul_f32_e32 v192, v46, v192                              // 000000010CA0: 0B81812E
	v_mul_f32_e32 v193, v46, v193                              // 000000010CA4: 0B83832E
	v_mul_f32_e32 v194, v46, v194                              // 000000010CA8: 0B85852E
	v_mul_f32_e32 v195, v46, v195                              // 000000010CAC: 0B87872E
	v_mul_f32_e32 v196, v46, v196                              // 000000010CB0: 0B89892E
	v_mul_f32_e32 v197, v46, v197                              // 000000010CB4: 0B8B8B2E
	v_mul_f32_e32 v198, v46, v198                              // 000000010CB8: 0B8D8D2E
	v_mul_f32_e32 v199, v46, v199                              // 000000010CBC: 0B8F8F2E
	s_waitcnt lgkmcnt(0)                                       // 000000010CC0: BF8CC07F
	v_max3_f32 v48, v64, v65, v48                              // 000000010CC4: D1D30030 04C28340
	v_max3_f32 v48, v66, v67, v48                              // 000000010CCC: D1D30030 04C28742
	v_max3_f32 v48, v68, v69, v48                              // 000000010CD4: D1D30030 04C28B44
	v_max3_f32 v48, v70, v71, v48                              // 000000010CDC: D1D30030 04C28F46
	v_max3_f32 v48, v72, v73, v48                              // 000000010CE4: D1D30030 04C29348
	v_max3_f32 v48, v74, v75, v48                              // 000000010CEC: D1D30030 04C2974A
	v_max3_f32 v48, v76, v77, v48                              // 000000010CF4: D1D30030 04C29B4C
	v_max3_f32 v48, v78, v79, v48                              // 000000010CFC: D1D30030 04C29F4E
	v_mov_b32_e32 v64, 0xff800000                              // 000000010D04: 7E8002FF FF800000
	v_cmp_eq_u32_e64 s[40:41], v64, v13                        // 000000010D0C: D0CA0028 00021B40
	s_nop 1                                                    // 000000010D14: BF800001
	v_max_f32_e32 v15, v48, v13                                // 000000010D18: 161E1B30
	v_mul_f32_e32 v53, s64, v15                                // 000000010D1C: 0A6A1E40
	v_fma_f32 v144, v144, s64, -v53                            // 000000010D20: D1CB0090 84D48190
	v_fma_f32 v145, v145, s64, -v53                            // 000000010D28: D1CB0091 84D48191
	v_fma_f32 v146, v146, s64, -v53                            // 000000010D30: D1CB0092 84D48192
	v_fma_f32 v147, v147, s64, -v53                            // 000000010D38: D1CB0093 84D48193
	v_fma_f32 v148, v148, s64, -v53                            // 000000010D40: D1CB0094 84D48194
	v_fma_f32 v149, v149, s64, -v53                            // 000000010D48: D1CB0095 84D48195
	v_fma_f32 v150, v150, s64, -v53                            // 000000010D50: D1CB0096 84D48196
	v_fma_f32 v151, v151, s64, -v53                            // 000000010D58: D1CB0097 84D48197
	v_fma_f32 v152, v152, s64, -v53                            // 000000010D60: D1CB0098 84D48198
	v_fma_f32 v153, v153, s64, -v53                            // 000000010D68: D1CB0099 84D48199
	v_fma_f32 v154, v154, s64, -v53                            // 000000010D70: D1CB009A 84D4819A
	v_fma_f32 v155, v155, s64, -v53                            // 000000010D78: D1CB009B 84D4819B
	v_fma_f32 v156, v156, s64, -v53                            // 000000010D80: D1CB009C 84D4819C
	v_fma_f32 v157, v157, s64, -v53                            // 000000010D88: D1CB009D 84D4819D
	v_fma_f32 v158, v158, s64, -v53                            // 000000010D90: D1CB009E 84D4819E
	v_fma_f32 v159, v159, s64, -v53                            // 000000010D98: D1CB009F 84D4819F
	v_exp_f32_e32 v144, v144                                   // 000000010DA0: 7F204190
	v_exp_f32_e32 v145, v145                                   // 000000010DA4: 7F224191
	v_exp_f32_e32 v146, v146                                   // 000000010DA8: 7F244192
	v_exp_f32_e32 v147, v147                                   // 000000010DAC: 7F264193
	v_exp_f32_e32 v148, v148                                   // 000000010DB0: 7F284194
	v_exp_f32_e32 v149, v149                                   // 000000010DB4: 7F2A4195
	v_exp_f32_e32 v150, v150                                   // 000000010DB8: 7F2C4196
	v_exp_f32_e32 v151, v151                                   // 000000010DBC: 7F2E4197
	v_exp_f32_e32 v152, v152                                   // 000000010DC0: 7F304198
	v_exp_f32_e32 v153, v153                                   // 000000010DC4: 7F324199
	v_exp_f32_e32 v154, v154                                   // 000000010DC8: 7F34419A
	v_exp_f32_e32 v155, v155                                   // 000000010DCC: 7F36419B
	v_exp_f32_e32 v156, v156                                   // 000000010DD0: 7F38419C
	v_exp_f32_e32 v157, v157                                   // 000000010DD4: 7F3A419D
	v_exp_f32_e32 v158, v158                                   // 000000010DD8: 7F3C419E
	v_exp_f32_e32 v159, v159                                   // 000000010DDC: 7F3E419F
	v_mul_f32_dpp v240, v252, v144 quad_perm:[0,0,0,0] row_mask:0xf bank_mask:0xf// 000000010DE0: 0BE120FA FF0000FC
	v_mul_f32_dpp v241, v252, v145 quad_perm:[1,1,1,1] row_mask:0xf bank_mask:0xf// 000000010DE8: 0BE322FA FF0055FC
	v_mul_f32_dpp v242, v252, v146 quad_perm:[2,2,2,2] row_mask:0xf bank_mask:0xf// 000000010DF0: 0BE524FA FF00AAFC
	v_mul_f32_dpp v243, v252, v147 quad_perm:[3,3,3,3] row_mask:0xf bank_mask:0xf// 000000010DF8: 0BE726FA FF00FFFC
	v_mul_f32_dpp v244, v253, v148 quad_perm:[0,0,0,0] row_mask:0xf bank_mask:0xf// 000000010E00: 0BE928FA FF0000FD
	v_mul_f32_dpp v245, v253, v149 quad_perm:[1,1,1,1] row_mask:0xf bank_mask:0xf// 000000010E08: 0BEB2AFA FF0055FD
	v_mul_f32_dpp v246, v253, v150 quad_perm:[2,2,2,2] row_mask:0xf bank_mask:0xf// 000000010E10: 0BED2CFA FF00AAFD
	v_mul_f32_dpp v247, v253, v151 quad_perm:[3,3,3,3] row_mask:0xf bank_mask:0xf// 000000010E18: 0BEF2EFA FF00FFFD
	v_mul_f32_dpp v248, v254, v152 quad_perm:[0,0,0,0] row_mask:0xf bank_mask:0xf// 000000010E20: 0BF130FA FF0000FE
	v_mul_f32_dpp v249, v254, v153 quad_perm:[1,1,1,1] row_mask:0xf bank_mask:0xf// 000000010E28: 0BF332FA FF0055FE
	v_mul_f32_dpp v250, v254, v154 quad_perm:[2,2,2,2] row_mask:0xf bank_mask:0xf// 000000010E30: 0BF534FA FF00AAFE
	v_mul_f32_dpp v251, v254, v155 quad_perm:[3,3,3,3] row_mask:0xf bank_mask:0xf// 000000010E38: 0BF736FA FF00FFFE
	v_mul_f32_dpp v252, v255, v156 quad_perm:[0,0,0,0] row_mask:0xf bank_mask:0xf// 000000010E40: 0BF938FA FF0000FF
	v_mul_f32_dpp v253, v255, v157 quad_perm:[1,1,1,1] row_mask:0xf bank_mask:0xf// 000000010E48: 0BFB3AFA FF0055FF
	v_mul_f32_dpp v254, v255, v158 quad_perm:[2,2,2,2] row_mask:0xf bank_mask:0xf// 000000010E50: 0BFD3CFA FF00AAFF
	v_mul_f32_dpp v255, v255, v159 quad_perm:[3,3,3,3] row_mask:0xf bank_mask:0xf// 000000010E58: 0BFF3EFA FF00FFFF
	v_mov_b32_e32 v48, 0x358637bd                              // 000000010E60: 7E6002FF 358637BD
	v_max3_f32 v48, |v240|, |v241|, v48                        // 000000010E68: D1D30330 04C3E3F0
	v_max3_f32 v48, |v242|, |v243|, v48                        // 000000010E70: D1D30330 04C3E7F2
	v_max3_f32 v48, |v244|, |v245|, v48                        // 000000010E78: D1D30330 04C3EBF4
	v_max3_f32 v48, |v246|, |v247|, v48                        // 000000010E80: D1D30330 04C3EFF6
	v_max3_f32 v48, |v248|, |v249|, v48                        // 000000010E88: D1D30330 04C3F3F8
	v_max3_f32 v48, |v250|, |v251|, v48                        // 000000010E90: D1D30330 04C3F7FA
	v_max3_f32 v48, |v252|, |v253|, v48                        // 000000010E98: D1D30330 04C3FBFC
	v_max3_f32 v48, |v254|, |v255|, v48                        // 000000010EA0: D1D30330 04C3FFFE
	ds_write_b32 v8, v48 offset:20992                          // 000000010EA8: D81A5200 00003008
	v_sub_f32_e32 v51, v13, v15                                // 000000010EB0: 04661F0D
	v_cndmask_b32_e64 v51, v51, 0, s[40:41]                    // 000000010EB4: D1000033 00A10133
	v_mov_b32_e32 v13, v15                                     // 000000010EBC: 7E1A030F
	v_mul_f32_e32 v51, s64, v51                                // 000000010EC0: 0A666640
	v_exp_f32_e32 v51, v51                                     // 000000010EC4: 7E664133
	s_waitcnt lgkmcnt(0)                                       // 000000010EC8: BF8CC07F
	s_barrier                                                  // 000000010ECC: BF8A0000
	ds_read_b32 v64, v7 offset:20992                           // 000000010ED0: D86C5200 40000007
	ds_read_b32 v65, v7 offset:21056                           // 000000010ED8: D86C5240 41000007
	ds_read_b32 v66, v7 offset:21120                           // 000000010EE0: D86C5280 42000007
	ds_read_b32 v67, v7 offset:21184                           // 000000010EE8: D86C52C0 43000007
	ds_read_b32 v68, v7 offset:21248                           // 000000010EF0: D86C5300 44000007
	ds_read_b32 v69, v7 offset:21312                           // 000000010EF8: D86C5340 45000007
	ds_read_b32 v70, v7 offset:21376                           // 000000010F00: D86C5380 46000007
	ds_read_b32 v71, v7 offset:21440                           // 000000010F08: D86C53C0 47000007
	ds_read_b32 v72, v7 offset:21504                           // 000000010F10: D86C5400 48000007
	ds_read_b32 v73, v7 offset:21568                           // 000000010F18: D86C5440 49000007
	ds_read_b32 v74, v7 offset:21632                           // 000000010F20: D86C5480 4A000007
	ds_read_b32 v75, v7 offset:21696                           // 000000010F28: D86C54C0 4B000007
	ds_read_b32 v76, v7 offset:21760                           // 000000010F30: D86C5500 4C000007
	ds_read_b32 v77, v7 offset:21824                           // 000000010F38: D86C5540 4D000007
	ds_read_b32 v78, v7 offset:21888                           // 000000010F40: D86C5580 4E000007
	ds_read_b32 v79, v7 offset:21952                           // 000000010F48: D86C55C0 4F000007
	v_mul_f32_e32 v40, v51, v40                                // 000000010F50: 0A505133
	v_mov_b32_e32 v15, v144                                    // 000000010F54: 7E1E0390
	v_add_f32_e32 v15, v145, v15                               // 000000010F58: 021E1F91
	v_add_f32_e32 v15, v146, v15                               // 000000010F5C: 021E1F92
	v_add_f32_e32 v15, v147, v15                               // 000000010F60: 021E1F93
	v_add_f32_e32 v15, v148, v15                               // 000000010F64: 021E1F94
	v_add_f32_e32 v15, v149, v15                               // 000000010F68: 021E1F95
	v_add_f32_e32 v15, v150, v15                               // 000000010F6C: 021E1F96
	v_add_f32_e32 v15, v151, v15                               // 000000010F70: 021E1F97
	v_add_f32_e32 v15, v152, v15                               // 000000010F74: 021E1F98
	v_add_f32_e32 v15, v153, v15                               // 000000010F78: 021E1F99
	v_add_f32_e32 v15, v154, v15                               // 000000010F7C: 021E1F9A
	v_add_f32_e32 v15, v155, v15                               // 000000010F80: 021E1F9B
	v_add_f32_e32 v15, v156, v15                               // 000000010F84: 021E1F9C
	v_add_f32_e32 v15, v157, v15                               // 000000010F88: 021E1F9D
	v_add_f32_e32 v15, v158, v15                               // 000000010F8C: 021E1F9E
	v_add_f32_e32 v15, v159, v15                               // 000000010F90: 021E1F9F
	v_add_f32_e32 v40, v15, v40                                // 000000010F94: 0250510F
	s_waitcnt lgkmcnt(0)                                       // 000000010F98: BF8CC07F
	v_max3_f32 v48, |v64|, |v65|, v48                          // 000000010F9C: D1D30330 04C28340
	v_max3_f32 v48, |v66|, |v67|, v48                          // 000000010FA4: D1D30330 04C28742
	v_max3_f32 v48, |v68|, |v69|, v48                          // 000000010FAC: D1D30330 04C28B44
	v_max3_f32 v48, |v70|, |v71|, v48                          // 000000010FB4: D1D30330 04C28F46
	v_max3_f32 v48, |v72|, |v73|, v48                          // 000000010FBC: D1D30330 04C29348
	v_max3_f32 v48, |v74|, |v75|, v48                          // 000000010FC4: D1D30330 04C2974A
	v_max3_f32 v48, |v76|, |v77|, v48                          // 000000010FCC: D1D30330 04C29B4C
	v_max3_f32 v48, |v78|, |v79|, v48                          // 000000010FD4: D1D30330 04C29F4E
	s_nop 2                                                    // 000000010FDC: BF800002
	v_rcp_f32_e32 v48, v48                                     // 000000010FE0: 7E604530
	s_nop 1                                                    // 000000010FE4: BF800001
	v_mul_f32_e32 v48, 0x42fe0000, v48                         // 000000010FE8: 0A6060FF 42FE0000
	v_mul_f32_e32 v144, v48, v240                              // 000000010FF0: 0B21E130
	v_mul_f32_e32 v145, v48, v241                              // 000000010FF4: 0B23E330
	v_mul_f32_e32 v146, v48, v242                              // 000000010FF8: 0B25E530
	v_mul_f32_e32 v147, v48, v243                              // 000000010FFC: 0B27E730
	v_mul_f32_e32 v148, v48, v244                              // 000000011000: 0B29E930
	v_mul_f32_e32 v149, v48, v245                              // 000000011004: 0B2BEB30
	v_mul_f32_e32 v150, v48, v246                              // 000000011008: 0B2DED30
	v_mul_f32_e32 v151, v48, v247                              // 00000001100C: 0B2FEF30
	v_mul_f32_e32 v152, v48, v248                              // 000000011010: 0B31F130
	v_mul_f32_e32 v153, v48, v249                              // 000000011014: 0B33F330
	v_mul_f32_e32 v154, v48, v250                              // 000000011018: 0B35F530
	v_mul_f32_e32 v155, v48, v251                              // 00000001101C: 0B37F730
	v_mul_f32_e32 v156, v48, v252                              // 000000011020: 0B39F930
	v_mul_f32_e32 v157, v48, v253                              // 000000011024: 0B3BFB30
	v_mul_f32_e32 v158, v48, v254                              // 000000011028: 0B3DFD30
	v_mul_f32_e32 v159, v48, v255                              // 00000001102C: 0B3FFF30
	v_cvt_i32_f32_e32 v144, v144                               // 000000011030: 7F201190
	v_cvt_i32_f32_e32 v145, v145                               // 000000011034: 7F221191
	v_cvt_i32_f32_e32 v146, v146                               // 000000011038: 7F241192
	v_cvt_i32_f32_e32 v147, v147                               // 00000001103C: 7F261193
	v_cvt_i32_f32_e32 v148, v148                               // 000000011040: 7F281194
	v_cvt_i32_f32_e32 v149, v149                               // 000000011044: 7F2A1195
	v_cvt_i32_f32_e32 v150, v150                               // 000000011048: 7F2C1196
	v_cvt_i32_f32_e32 v151, v151                               // 00000001104C: 7F2E1197
	v_cvt_i32_f32_e32 v152, v152                               // 000000011050: 7F301198
	v_cvt_i32_f32_e32 v153, v153                               // 000000011054: 7F321199
	v_cvt_i32_f32_e32 v154, v154                               // 000000011058: 7F34119A
	v_cvt_i32_f32_e32 v155, v155                               // 00000001105C: 7F36119B
	v_cvt_i32_f32_e32 v156, v156                               // 000000011060: 7F38119C
	v_cvt_i32_f32_e32 v157, v157                               // 000000011064: 7F3A119D
	v_cvt_i32_f32_e32 v158, v158                               // 000000011068: 7F3C119E
	v_cvt_i32_f32_e32 v159, v159                               // 00000001106C: 7F3E119F
	v_perm_b32 v144, v145, v144, s53                           // 000000011070: D1ED0090 00D72191
	v_perm_b32 v144, v146, v144, s54                           // 000000011078: D1ED0090 00DB2192
	v_perm_b32 v144, v147, v144, s55                           // 000000011080: D1ED0090 00DF2193
	v_perm_b32 v145, v149, v148, s53                           // 000000011088: D1ED0091 00D72995
	v_perm_b32 v145, v150, v145, s54                           // 000000011090: D1ED0091 00DB2396
	v_perm_b32 v145, v151, v145, s55                           // 000000011098: D1ED0091 00DF2397
	v_perm_b32 v146, v153, v152, s53                           // 0000000110A0: D1ED0092 00D73199
	v_perm_b32 v146, v154, v146, s54                           // 0000000110A8: D1ED0092 00DB259A
	v_perm_b32 v146, v155, v146, s55                           // 0000000110B0: D1ED0092 00DF259B
	v_perm_b32 v147, v157, v156, s53                           // 0000000110B8: D1ED0093 00D7399D
	v_perm_b32 v147, v158, v147, s54                           // 0000000110C0: D1ED0093 00DB279E
	v_perm_b32 v147, v159, v147, s55                           // 0000000110C8: D1ED0093 00DF279F
	ds_write_b32 v10, v144 offset:33280                        // 0000000110D0: D81A8200 0000900A
	ds_write_b32 v10, v145 offset:34304                        // 0000000110D8: D81A8600 0000910A
	ds_write_b32 v10, v146 offset:35328                        // 0000000110E0: D81A8A00 0000920A
	ds_write_b32 v10, v147 offset:36352                        // 0000000110E8: D81A8E00 0000930A
	v_add_f32_e32 v224, v224, v192                             // 0000000110F0: 03C181E0
	v_add_f32_e32 v225, v225, v193                             // 0000000110F4: 03C383E1
	v_add_f32_e32 v226, v226, v194                             // 0000000110F8: 03C585E2
	v_add_f32_e32 v227, v227, v195                             // 0000000110FC: 03C787E3
	v_add_f32_e32 v228, v228, v196                             // 000000011100: 03C989E4
	v_add_f32_e32 v229, v229, v197                             // 000000011104: 03CB8BE5
	v_add_f32_e32 v230, v230, v198                             // 000000011108: 03CD8DE6
	v_add_f32_e32 v231, v231, v199                             // 00000001110C: 03CF8FE7
	v_rcp_f32_e32 v46, v48                                     // 000000011110: 7E5C4530
	s_waitcnt lgkmcnt(0)                                       // 000000011114: BF8CC07F
	s_barrier                                                  // 000000011118: BF8A0000
	ds_read_b64 v[144:145], v9 offset:33280                    // 00000001111C: D8EC8200 90000009
	ds_read_b64 v[146:147], v9 offset:33408                    // 000000011124: D8EC8280 92000009
	ds_read_b64 v[148:149], v9 offset:34304                    // 00000001112C: D8EC8600 94000009
	ds_read_b64 v[150:151], v9 offset:34432                    // 000000011134: D8EC8680 96000009
	ds_read_b64 v[152:153], v9 offset:35328                    // 00000001113C: D8EC8A00 98000009
	ds_read_b64 v[154:155], v9 offset:35456                    // 000000011144: D8EC8A80 9A000009
	ds_read_b64 v[156:157], v9 offset:36352                    // 00000001114C: D8EC8E00 9C000009
	ds_read_b64 v[158:159], v9 offset:36480                    // 000000011154: D8EC8E80 9E000009
	s_waitcnt vmcnt(15)                                        // 00000001115C: BF8C0F7F
	v_mfma_i32_16x16x32_i8 v[176:179], a[64:65], v[112:113], 0 // 000000011160: D3D700B0 0A02E140
	v_mfma_i32_16x16x32_i8 v[176:179], a[66:67], v[114:115], v[176:179]// 000000011168: D3D700B0 0EC2E542
	buffer_load_dwordx4 a[112:115], v34, s[20:23], 0 offen offset:1024// 000000011170: E05C1400 80857022
	v_mfma_i32_16x16x32_i8 v[176:179], a[68:69], v[116:117], v[176:179]// 000000011178: D3D700B0 0EC2E944
	v_mfma_i32_16x16x32_i8 v[176:179], a[70:71], v[118:119], v[176:179]// 000000011180: D3D700B0 0EC2ED46
	v_mfma_i32_16x16x32_i8 v[176:179], a[72:73], v[120:121], v[176:179]// 000000011188: D3D700B0 0EC2F148
	v_mfma_i32_16x16x32_i8 v[176:179], a[74:75], v[122:123], v[176:179]// 000000011190: D3D700B0 0EC2F54A
	buffer_load_dwordx4 a[116:119], v35, s[20:23], 0 offen offset:1024// 000000011198: E05C1400 80857423
	v_mfma_i32_16x16x32_i8 v[176:179], a[76:77], v[124:125], v[176:179]// 0000000111A0: D3D700B0 0EC2F94C
	v_mfma_i32_16x16x32_i8 v[176:179], a[78:79], v[126:127], v[176:179]// 0000000111A8: D3D700B0 0EC2FD4E
	v_mfma_i32_16x16x32_i8 v[180:183], a[80:81], v[112:113], 0 // 0000000111B0: D3D700B4 0A02E150
	v_mfma_i32_16x16x32_i8 v[180:183], a[82:83], v[114:115], v[180:183]// 0000000111B8: D3D700B4 0ED2E552
	buffer_load_dwordx4 a[120:123], v36, s[20:23], 0 offen offset:1024// 0000000111C0: E05C1400 80857824
	v_mfma_i32_16x16x32_i8 v[180:183], a[84:85], v[116:117], v[180:183]// 0000000111C8: D3D700B4 0ED2E954
	v_mfma_i32_16x16x32_i8 v[180:183], a[86:87], v[118:119], v[180:183]// 0000000111D0: D3D700B4 0ED2ED56
	v_mfma_i32_16x16x32_i8 v[180:183], a[88:89], v[120:121], v[180:183]// 0000000111D8: D3D700B4 0ED2F158
	v_mfma_i32_16x16x32_i8 v[180:183], a[90:91], v[122:123], v[180:183]// 0000000111E0: D3D700B4 0ED2F55A
	buffer_load_dwordx4 a[124:127], v37, s[20:23], 0 offen offset:1024// 0000000111E8: E05C1400 80857C25
	v_mfma_i32_16x16x32_i8 v[180:183], a[92:93], v[124:125], v[180:183]// 0000000111F0: D3D700B4 0ED2F95C
	s_lshr_b32 s57, s70, 4                                     // 0000000111F8: 8F398446
	s_add_u32 s57, 48, s57                                     // 0000000111FC: 803939B0
	v_mfma_i32_16x16x32_i8 v[180:183], a[94:95], v[126:127], v[180:183]// 000000011200: D3D700B4 0ED2FD5E
	s_cmp_ge_u32 s57, s73                                      // 000000011208: BF094939
	s_cselect_b32 s56, 0, s56                                  // 00000001120C: 85383880
	v_mfma_i32_16x16x32_i8 v[184:187], a[64:65], v[128:129], 0 // 000000011210: D3D700B8 0A030140
	v_mfma_i32_16x16x32_i8 v[184:187], a[66:67], v[130:131], v[184:187]// 000000011218: D3D700B8 0EE30542
	v_mfma_i32_16x16x32_i8 v[184:187], a[68:69], v[132:133], v[184:187]// 000000011220: D3D700B8 0EE30944
	v_mfma_i32_16x16x32_i8 v[184:187], a[70:71], v[134:135], v[184:187]// 000000011228: D3D700B8 0EE30D46
	v_mfma_i32_16x16x32_i8 v[184:187], a[72:73], v[136:137], v[184:187]// 000000011230: D3D700B8 0EE31148
	v_mfma_i32_16x16x32_i8 v[184:187], a[74:75], v[138:139], v[184:187]// 000000011238: D3D700B8 0EE3154A
	v_mfma_i32_16x16x32_i8 v[184:187], a[76:77], v[140:141], v[184:187]// 000000011240: D3D700B8 0EE3194C
	v_mfma_i32_16x16x32_i8 v[184:187], a[78:79], v[142:143], v[184:187]// 000000011248: D3D700B8 0EE31D4E
	v_mfma_i32_16x16x32_i8 v[188:191], a[80:81], v[128:129], 0 // 000000011250: D3D700BC 0A030150
	v_mfma_i32_16x16x32_i8 v[188:191], a[82:83], v[130:131], v[188:191]// 000000011258: D3D700BC 0EF30552
	v_mfma_i32_16x16x32_i8 v[188:191], a[84:85], v[132:133], v[188:191]// 000000011260: D3D700BC 0EF30954
	v_mfma_i32_16x16x32_i8 v[188:191], a[86:87], v[134:135], v[188:191]// 000000011268: D3D700BC 0EF30D56
	v_mfma_i32_16x16x32_i8 v[188:191], a[88:89], v[136:137], v[188:191]// 000000011270: D3D700BC 0EF31158
	v_mfma_i32_16x16x32_i8 v[188:191], a[90:91], v[138:139], v[188:191]// 000000011278: D3D700BC 0EF3155A
	v_mfma_i32_16x16x32_i8 v[188:191], a[92:93], v[140:141], v[188:191]// 000000011280: D3D700BC 0EF3195C
	v_mfma_i32_16x16x32_i8 v[188:191], a[94:95], v[142:143], v[188:191]// 000000011288: D3D700BC 0EF31D5E
	v_mfma_i32_16x16x32_i8 v[192:195], a[64:65], v[144:145], 0 // 000000011290: D3D700C0 0A032140
	v_mfma_i32_16x16x32_i8 v[192:195], a[66:67], v[146:147], v[192:195]// 000000011298: D3D700C0 0F032542
	v_mfma_i32_16x16x32_i8 v[192:195], a[68:69], v[148:149], v[192:195]// 0000000112A0: D3D700C0 0F032944
	v_mfma_i32_16x16x32_i8 v[192:195], a[70:71], v[150:151], v[192:195]// 0000000112A8: D3D700C0 0F032D46
	v_mfma_i32_16x16x32_i8 v[192:195], a[72:73], v[152:153], v[192:195]// 0000000112B0: D3D700C0 0F033148
	v_mfma_i32_16x16x32_i8 v[192:195], a[74:75], v[154:155], v[192:195]// 0000000112B8: D3D700C0 0F03354A
	v_mfma_i32_16x16x32_i8 v[192:195], a[76:77], v[156:157], v[192:195]// 0000000112C0: D3D700C0 0F03394C
	v_mfma_i32_16x16x32_i8 v[192:195], a[78:79], v[158:159], v[192:195]// 0000000112C8: D3D700C0 0F033D4E
	v_mfma_i32_16x16x32_i8 v[196:199], a[80:81], v[144:145], 0 // 0000000112D0: D3D700C4 0A032150
	v_mfma_i32_16x16x32_i8 v[196:199], a[82:83], v[146:147], v[196:199]// 0000000112D8: D3D700C4 0F132552
	v_mfma_i32_16x16x32_i8 v[196:199], a[84:85], v[148:149], v[196:199]// 0000000112E0: D3D700C4 0F132954
	v_mfma_i32_16x16x32_i8 v[196:199], a[86:87], v[150:151], v[196:199]// 0000000112E8: D3D700C4 0F132D56
	v_mfma_i32_16x16x32_i8 v[196:199], a[88:89], v[152:153], v[196:199]// 0000000112F0: D3D700C4 0F133158
	v_mfma_i32_16x16x32_i8 v[196:199], a[90:91], v[154:155], v[196:199]// 0000000112F8: D3D700C4 0F13355A
	v_mfma_i32_16x16x32_i8 v[196:199], a[92:93], v[156:157], v[196:199]// 000000011300: D3D700C4 0F13395C
	v_mfma_i32_16x16x32_i8 v[196:199], a[94:95], v[158:159], v[196:199]// 000000011308: D3D700C4 0F133D5E
	v_add_u32_e32 v1, s56, v1                                  // 000000011310: 68020238
	s_addk_i32 s70, 0x100                                      // 000000011314: B7460100
	s_cmp_lt_i32 s70, s71                                      // 000000011318: BF044746
	s_cbranch_scc0 label_430F                                  // 00000001131C: BF8406C7
	s_waitcnt vmcnt(8) lgkmcnt(0)                              // 000000011320: BF8C0078
	v_mul_u32_u24_dpp v64, v16, v54 row_newbcast:0 row_mask:0xf bank_mask:0xf// 000000011324: 10806CFA FF015010
	v_mul_u32_u24_dpp v65, v16, v54 row_newbcast:4 row_mask:0xf bank_mask:0xf// 00000001132C: 10826CFA FF015410
	v_mul_u32_u24_dpp v66, v16, v54 row_newbcast:8 row_mask:0xf bank_mask:0xf// 000000011334: 10846CFA FF015810
	v_mul_u32_u24_dpp v67, v16, v54 row_newbcast:12 row_mask:0xf bank_mask:0xf// 00000001133C: 10866CFA FF015C10
	v_add_u32_e32 v22, v64, v5                                 // 000000011344: 682C0B40
	v_add_u32_e32 v23, v65, v5                                 // 000000011348: 682E0B41
	v_add_u32_e32 v24, v66, v5                                 // 00000001134C: 68300B42
	v_add_u32_e32 v25, v67, v5                                 // 000000011350: 68320B43
	v_mul_u32_u24_dpp v64, v16, v63 quad_perm:[0,0,0,0] row_mask:0xf bank_mask:0xf// 000000011354: 10807EFA FF000010
	v_add_u32_e32 v2, v64, v59                                 // 00000001135C: 68047740
	v_mul_u32_u24_dpp v64, v16, v63 quad_perm:[0,0,0,0] row_mask:0xf bank_mask:0xf// 000000011360: 10807EFA FF000010
	v_add_u32_e32 v55, v64, v60                                // 000000011368: 686E7940
	v_mfma_i32_16x16x32_i8 v[112:115], a[32:33], v[80:81], 0   // 00000001136C: D3D70070 0A02A120
	v_mfma_i32_16x16x32_i8 v[112:115], a[34:35], v[82:83], v[112:115]// 000000011374: D3D70070 0DC2A522
	buffer_load_dwordx4 a[0:3], v22, s[16:19], 0 offen         // 00000001137C: E05C1000 80840016
	v_mfma_i32_16x16x32_i8 v[112:115], a[36:37], v[84:85], v[112:115]// 000000011384: D3D70070 0DC2A924
	v_mfma_i32_16x16x32_i8 v[112:115], a[38:39], v[86:87], v[112:115]// 00000001138C: D3D70070 0DC2AD26
	buffer_load_dword v17, v1, s[24:27], 0 offen               // 000000011394: E0501000 80061101
	v_mfma_i32_16x16x32_i8 v[116:119], a[40:41], v[80:81], 0   // 00000001139C: D3D70074 0A02A128
	v_mfma_i32_16x16x32_i8 v[116:119], a[42:43], v[82:83], v[116:119]// 0000000113A4: D3D70074 0DD2A52A
	buffer_load_dwordx4 a[4:7], v22, s[16:19], 0 offen offset:1024// 0000000113AC: E05C1400 80840416
	v_mfma_i32_16x16x32_i8 v[116:119], a[44:45], v[84:85], v[116:119]// 0000000113B4: D3D70074 0DD2A92C
	v_mfma_i32_16x16x32_i8 v[116:119], a[46:47], v[86:87], v[116:119]// 0000000113BC: D3D70074 0DD2AD2E
	v_mfma_i32_16x16x32_i8 v[120:123], a[48:49], v[80:81], 0   // 0000000113C4: D3D70078 0A02A130
	v_mfma_i32_16x16x32_i8 v[120:123], a[50:51], v[82:83], v[120:123]// 0000000113CC: D3D70078 0DE2A532
	buffer_load_dwordx4 a[8:11], v23, s[16:19], 0 offen        // 0000000113D4: E05C1000 80840817
	v_mfma_i32_16x16x32_i8 v[120:123], a[52:53], v[84:85], v[120:123]// 0000000113DC: D3D70078 0DE2A934
	v_mfma_i32_16x16x32_i8 v[120:123], a[54:55], v[86:87], v[120:123]// 0000000113E4: D3D70078 0DE2AD36
	v_mfma_i32_16x16x32_i8 v[124:127], a[56:57], v[80:81], 0   // 0000000113EC: D3D7007C 0A02A138
	v_mfma_i32_16x16x32_i8 v[124:127], a[58:59], v[82:83], v[124:127]// 0000000113F4: D3D7007C 0DF2A53A
	buffer_load_dwordx4 a[12:15], v23, s[16:19], 0 offen offset:1024// 0000000113FC: E05C1400 80840C17
	v_mfma_i32_16x16x32_i8 v[124:127], a[60:61], v[84:85], v[124:127]// 000000011404: D3D7007C 0DF2A93C
	v_mfma_i32_16x16x32_i8 v[124:127], a[62:63], v[86:87], v[124:127]// 00000001140C: D3D7007C 0DF2AD3E
	v_mfma_i32_16x16x32_i8 v[128:131], a[32:33], v[88:89], 0   // 000000011414: D3D70080 0A02B120
	v_mfma_i32_16x16x32_i8 v[128:131], a[34:35], v[90:91], v[128:131]// 00000001141C: D3D70080 0E02B522
	v_mfma_i32_16x16x32_i8 v[128:131], a[36:37], v[92:93], v[128:131]// 000000011424: D3D70080 0E02B924
	v_mfma_i32_16x16x32_i8 v[128:131], a[38:39], v[94:95], v[128:131]// 00000001142C: D3D70080 0E02BD26
	v_mfma_i32_16x16x32_i8 v[132:135], a[40:41], v[88:89], 0   // 000000011434: D3D70084 0A02B128
	v_mfma_i32_16x16x32_i8 v[132:135], a[42:43], v[90:91], v[132:135]// 00000001143C: D3D70084 0E12B52A
	v_mfma_i32_16x16x32_i8 v[132:135], a[44:45], v[92:93], v[132:135]// 000000011444: D3D70084 0E12B92C
	v_mfma_i32_16x16x32_i8 v[132:135], a[46:47], v[94:95], v[132:135]// 00000001144C: D3D70084 0E12BD2E
	v_mfma_i32_16x16x32_i8 v[136:139], a[48:49], v[88:89], 0   // 000000011454: D3D70088 0A02B130
	v_mfma_i32_16x16x32_i8 v[136:139], a[50:51], v[90:91], v[136:139]// 00000001145C: D3D70088 0E22B532
	v_mfma_i32_16x16x32_i8 v[136:139], a[52:53], v[92:93], v[136:139]// 000000011464: D3D70088 0E22B934
	v_mfma_i32_16x16x32_i8 v[136:139], a[54:55], v[94:95], v[136:139]// 00000001146C: D3D70088 0E22BD36
	v_mfma_i32_16x16x32_i8 v[140:143], a[56:57], v[88:89], 0   // 000000011474: D3D7008C 0A02B138
	v_mfma_i32_16x16x32_i8 v[140:143], a[58:59], v[90:91], v[140:143]// 00000001147C: D3D7008C 0E32B53A
	v_mfma_i32_16x16x32_i8 v[140:143], a[60:61], v[92:93], v[140:143]// 000000011484: D3D7008C 0E32B93C
	v_mfma_i32_16x16x32_i8 v[140:143], a[62:63], v[94:95], v[140:143]// 00000001148C: D3D7008C 0E32BD3E
	v_mfma_i32_16x16x32_i8 v[144:147], a[32:33], v[96:97], 0   // 000000011494: D3D70090 0A02C120
	v_mfma_i32_16x16x32_i8 v[144:147], a[34:35], v[98:99], v[144:147]// 00000001149C: D3D70090 0E42C522
	v_mfma_i32_16x16x32_i8 v[144:147], a[36:37], v[100:101], v[144:147]// 0000000114A4: D3D70090 0E42C924
	v_mfma_i32_16x16x32_i8 v[144:147], a[38:39], v[102:103], v[144:147]// 0000000114AC: D3D70090 0E42CD26
	v_mfma_i32_16x16x32_i8 v[148:151], a[40:41], v[96:97], 0   // 0000000114B4: D3D70094 0A02C128
	v_mfma_i32_16x16x32_i8 v[148:151], a[42:43], v[98:99], v[148:151]// 0000000114BC: D3D70094 0E52C52A
	v_mfma_i32_16x16x32_i8 v[148:151], a[44:45], v[100:101], v[148:151]// 0000000114C4: D3D70094 0E52C92C
	v_mfma_i32_16x16x32_i8 v[148:151], a[46:47], v[102:103], v[148:151]// 0000000114CC: D3D70094 0E52CD2E
	v_mfma_i32_16x16x32_i8 v[152:155], a[48:49], v[96:97], 0   // 0000000114D4: D3D70098 0A02C130
	v_mfma_i32_16x16x32_i8 v[152:155], a[50:51], v[98:99], v[152:155]// 0000000114DC: D3D70098 0E62C532
	v_mfma_i32_16x16x32_i8 v[152:155], a[52:53], v[100:101], v[152:155]// 0000000114E4: D3D70098 0E62C934
	v_mfma_i32_16x16x32_i8 v[152:155], a[54:55], v[102:103], v[152:155]// 0000000114EC: D3D70098 0E62CD36
	v_mfma_i32_16x16x32_i8 v[156:159], a[56:57], v[96:97], 0   // 0000000114F4: D3D7009C 0A02C138
	v_mfma_i32_16x16x32_i8 v[156:159], a[58:59], v[98:99], v[156:159]// 0000000114FC: D3D7009C 0E72C53A
	v_mfma_i32_16x16x32_i8 v[156:159], a[60:61], v[100:101], v[156:159]// 000000011504: D3D7009C 0E72C93C
	v_mfma_i32_16x16x32_i8 v[156:159], a[62:63], v[102:103], v[156:159]// 00000001150C: D3D7009C 0E72CD3E
	buffer_load_dword v42, v2, s[32:35], 0 offen               // 000000011514: E0501000 80082A02
	v_mov_b32_dpp v64, v43 row_shr:4 row_mask:0xf bank_mask:0xf// 00000001151C: 7E8002FA FF01142B
	v_mov_b32_dpp v65, v43 row_shl:4 row_mask:0xf bank_mask:0xf// 000000011524: 7E8202FA FF01042B
	v_cndmask_b32_e64 v248, v43, v64, s[44:45]                 // 00000001152C: D10000F8 00B2812B
	v_cndmask_b32_e64 v249, v65, v43, s[44:45]                 // 000000011534: D10000F9 00B25741
	v_mov_b32_dpp v64, v248 row_shr:8 row_mask:0xf bank_mask:0xf// 00000001153C: 7E8002FA FF0118F8
	v_mov_b32_dpp v65, v248 row_shl:8 row_mask:0xf bank_mask:0xf// 000000011544: 7E8202FA FF0108F8
	v_mov_b32_dpp v66, v249 row_shr:8 row_mask:0xf bank_mask:0xf// 00000001154C: 7E8402FA FF0118F9
	v_mov_b32_dpp v67, v249 row_shl:8 row_mask:0xf bank_mask:0xf// 000000011554: 7E8602FA FF0108F9
	v_mov_b32_e32 v68, v248                                    // 00000001155C: 7E8803F8
	v_mov_b32_e32 v69, v249                                    // 000000011560: 7E8A03F9
	v_cndmask_b32_e64 v248, v68, v64, s[42:43]                 // 000000011564: D10000F8 00AA8144
	v_cndmask_b32_e64 v250, v68, v65, s[78:79]                 // 00000001156C: D10000FA 013A8344
	v_cndmask_b32_e64 v249, v69, v66, s[42:43]                 // 000000011574: D10000F9 00AA8545
	v_cndmask_b32_e64 v251, v69, v67, s[78:79]                 // 00000001157C: D10000FB 013A8745
	v_mov_b32_dpp v64, v58 row_shr:4 row_mask:0xf bank_mask:0xf// 000000011584: 7E8002FA FF01143A
	v_mov_b32_dpp v65, v58 row_shl:4 row_mask:0xf bank_mask:0xf// 00000001158C: 7E8202FA FF01043A
	v_cndmask_b32_e64 v252, v58, v64, s[44:45]                 // 000000011594: D10000FC 00B2813A
	v_cndmask_b32_e64 v253, v65, v58, s[44:45]                 // 00000001159C: D10000FD 00B27541
	v_mov_b32_dpp v64, v252 row_shr:8 row_mask:0xf bank_mask:0xf// 0000000115A4: 7E8002FA FF0118FC
	v_mov_b32_dpp v65, v252 row_shl:8 row_mask:0xf bank_mask:0xf// 0000000115AC: 7E8202FA FF0108FC
	v_mov_b32_dpp v66, v253 row_shr:8 row_mask:0xf bank_mask:0xf// 0000000115B4: 7E8402FA FF0118FD
	v_mov_b32_dpp v67, v253 row_shl:8 row_mask:0xf bank_mask:0xf// 0000000115BC: 7E8602FA FF0108FD
	v_mov_b32_e32 v68, v252                                    // 0000000115C4: 7E8803FC
	v_mov_b32_e32 v69, v253                                    // 0000000115C8: 7E8A03FD
	v_cndmask_b32_e64 v252, v68, v64, s[42:43]                 // 0000000115CC: D10000FC 00AA8144
	v_cndmask_b32_e64 v254, v68, v65, s[78:79]                 // 0000000115D4: D10000FE 013A8344
	v_cndmask_b32_e64 v253, v69, v66, s[42:43]                 // 0000000115DC: D10000FD 00AA8545
	v_cndmask_b32_e64 v255, v69, v67, s[78:79]                 // 0000000115E4: D10000FF 013A8745
	buffer_load_dword v57, v55, s[36:39], 0 offen              // 0000000115EC: E0501000 80093937
	v_cvt_f32_i32_e32 v112, v112                               // 0000000115F4: 7EE00B70
	v_cvt_f32_i32_e32 v113, v113                               // 0000000115F8: 7EE20B71
	v_cvt_f32_i32_e32 v114, v114                               // 0000000115FC: 7EE40B72
	v_cvt_f32_i32_e32 v115, v115                               // 000000011600: 7EE60B73
	v_cvt_f32_i32_e32 v116, v116                               // 000000011604: 7EE80B74
	v_cvt_f32_i32_e32 v117, v117                               // 000000011608: 7EEA0B75
	v_cvt_f32_i32_e32 v118, v118                               // 00000001160C: 7EEC0B76
	v_cvt_f32_i32_e32 v119, v119                               // 000000011610: 7EEE0B77
	v_cvt_f32_i32_e32 v120, v120                               // 000000011614: 7EF00B78
	v_cvt_f32_i32_e32 v121, v121                               // 000000011618: 7EF20B79
	v_cvt_f32_i32_e32 v122, v122                               // 00000001161C: 7EF40B7A
	v_cvt_f32_i32_e32 v123, v123                               // 000000011620: 7EF60B7B
	v_cvt_f32_i32_e32 v124, v124                               // 000000011624: 7EF80B7C
	v_cvt_f32_i32_e32 v125, v125                               // 000000011628: 7EFA0B7D
	v_cvt_f32_i32_e32 v126, v126                               // 00000001162C: 7EFC0B7E
	v_cvt_f32_i32_e32 v127, v127                               // 000000011630: 7EFE0B7F
	v_mul_f32_e32 v112, v18, v112                              // 000000011634: 0AE0E112
	v_mul_f32_e32 v113, v18, v113                              // 000000011638: 0AE2E312
	v_mul_f32_e32 v114, v18, v114                              // 00000001163C: 0AE4E512
	v_mul_f32_e32 v115, v18, v115                              // 000000011640: 0AE6E712
	v_mul_f32_e32 v116, v18, v116                              // 000000011644: 0AE8E912
	v_mul_f32_e32 v117, v18, v117                              // 000000011648: 0AEAEB12
	v_mul_f32_e32 v118, v18, v118                              // 00000001164C: 0AECED12
	v_mul_f32_e32 v119, v18, v119                              // 000000011650: 0AEEEF12
	v_mul_f32_e32 v120, v18, v120                              // 000000011654: 0AF0F112
	v_mul_f32_e32 v121, v18, v121                              // 000000011658: 0AF2F312
	v_mul_f32_e32 v122, v18, v122                              // 00000001165C: 0AF4F512
	v_mul_f32_e32 v123, v18, v123                              // 000000011660: 0AF6F712
	v_mul_f32_e32 v124, v18, v124                              // 000000011664: 0AF8F912
	v_mul_f32_e32 v125, v18, v125                              // 000000011668: 0AFAFB12
	v_mul_f32_e32 v126, v18, v126                              // 00000001166C: 0AFCFD12
	v_mul_f32_e32 v127, v18, v127                              // 000000011670: 0AFEFF12
	buffer_load_dwordx4 a[16:19], v24, s[16:19], 0 offen       // 000000011674: E05C1000 80841018
	v_mul_f32_dpp v112, v248, v112 quad_perm:[0,0,0,0] row_mask:0xf bank_mask:0xf// 00000001167C: 0AE0E0FA FF0000F8
	v_mul_f32_dpp v113, v248, v113 quad_perm:[1,1,1,1] row_mask:0xf bank_mask:0xf// 000000011684: 0AE2E2FA FF0055F8
	v_mul_f32_dpp v114, v248, v114 quad_perm:[2,2,2,2] row_mask:0xf bank_mask:0xf// 00000001168C: 0AE4E4FA FF00AAF8
	v_mul_f32_dpp v115, v248, v115 quad_perm:[3,3,3,3] row_mask:0xf bank_mask:0xf// 000000011694: 0AE6E6FA FF00FFF8
	v_mul_f32_dpp v116, v249, v116 quad_perm:[0,0,0,0] row_mask:0xf bank_mask:0xf// 00000001169C: 0AE8E8FA FF0000F9
	v_mul_f32_dpp v117, v249, v117 quad_perm:[1,1,1,1] row_mask:0xf bank_mask:0xf// 0000000116A4: 0AEAEAFA FF0055F9
	v_mul_f32_dpp v118, v249, v118 quad_perm:[2,2,2,2] row_mask:0xf bank_mask:0xf// 0000000116AC: 0AECECFA FF00AAF9
	v_mul_f32_dpp v119, v249, v119 quad_perm:[3,3,3,3] row_mask:0xf bank_mask:0xf// 0000000116B4: 0AEEEEFA FF00FFF9
	v_mul_f32_dpp v120, v250, v120 quad_perm:[0,0,0,0] row_mask:0xf bank_mask:0xf// 0000000116BC: 0AF0F0FA FF0000FA
	v_mul_f32_dpp v121, v250, v121 quad_perm:[1,1,1,1] row_mask:0xf bank_mask:0xf// 0000000116C4: 0AF2F2FA FF0055FA
	v_mul_f32_dpp v122, v250, v122 quad_perm:[2,2,2,2] row_mask:0xf bank_mask:0xf// 0000000116CC: 0AF4F4FA FF00AAFA
	v_mul_f32_dpp v123, v250, v123 quad_perm:[3,3,3,3] row_mask:0xf bank_mask:0xf// 0000000116D4: 0AF6F6FA FF00FFFA
	v_mul_f32_dpp v124, v251, v124 quad_perm:[0,0,0,0] row_mask:0xf bank_mask:0xf// 0000000116DC: 0AF8F8FA FF0000FB
	v_mul_f32_dpp v125, v251, v125 quad_perm:[1,1,1,1] row_mask:0xf bank_mask:0xf// 0000000116E4: 0AFAFAFA FF0055FB
	v_mul_f32_dpp v126, v251, v126 quad_perm:[2,2,2,2] row_mask:0xf bank_mask:0xf// 0000000116EC: 0AFCFCFA FF00AAFB
	v_mul_f32_dpp v127, v251, v127 quad_perm:[3,3,3,3] row_mask:0xf bank_mask:0xf// 0000000116F4: 0AFEFEFA FF00FFFB
	buffer_load_dwordx4 a[20:23], v24, s[16:19], 0 offen offset:1024// 0000000116FC: E05C1400 80841418
	v_mov_b32_e32 v48, v112                                    // 000000011704: 7E600370
	v_max3_f32 v48, v112, v113, v48                            // 000000011708: D1D30030 04C2E370
	v_max3_f32 v48, v114, v115, v48                            // 000000011710: D1D30030 04C2E772
	v_max3_f32 v48, v116, v117, v48                            // 000000011718: D1D30030 04C2EB74
	v_max3_f32 v48, v118, v119, v48                            // 000000011720: D1D30030 04C2EF76
	v_max3_f32 v48, v120, v121, v48                            // 000000011728: D1D30030 04C2F378
	v_max3_f32 v48, v122, v123, v48                            // 000000011730: D1D30030 04C2F77A
	v_max3_f32 v48, v124, v125, v48                            // 000000011738: D1D30030 04C2FB7C
	v_max3_f32 v48, v126, v127, v48                            // 000000011740: D1D30030 04C2FF7E
	ds_write_b32 v8, v48 offset:16896                          // 000000011748: D81A4200 00003008
	buffer_load_dwordx4 a[24:27], v25, s[16:19], 0 offen       // 000000011750: E05C1000 80841819
	v_mul_u32_u24_dpp v64, v16, v54 row_newbcast:1 row_mask:0xf bank_mask:0xf// 000000011758: 10806CFA FF015110
	v_mul_u32_u24_dpp v65, v16, v54 row_newbcast:5 row_mask:0xf bank_mask:0xf// 000000011760: 10826CFA FF015510
	v_mul_u32_u24_dpp v66, v16, v54 row_newbcast:9 row_mask:0xf bank_mask:0xf// 000000011768: 10846CFA FF015910
	v_mul_u32_u24_dpp v67, v16, v54 row_newbcast:13 row_mask:0xf bank_mask:0xf// 000000011770: 10866CFA FF015D10
	v_add_u32_e32 v30, v64, v6                                 // 000000011778: 683C0D40
	v_add_u32_e32 v31, v65, v6                                 // 00000001177C: 683E0D41
	v_add_u32_e32 v32, v66, v6                                 // 000000011780: 68400D42
	v_add_u32_e32 v33, v67, v6                                 // 000000011784: 68420D43
	v_mul_f32_e32 v208, v49, v208                              // 000000011788: 0BA1A131
	v_mul_f32_e32 v209, v49, v209                              // 00000001178C: 0BA3A331
	v_mul_f32_e32 v210, v49, v210                              // 000000011790: 0BA5A531
	v_mul_f32_e32 v211, v49, v211                              // 000000011794: 0BA7A731
	v_mul_f32_e32 v212, v49, v212                              // 000000011798: 0BA9A931
	v_mul_f32_e32 v213, v49, v213                              // 00000001179C: 0BABAB31
	v_mul_f32_e32 v214, v49, v214                              // 0000000117A0: 0BADAD31
	v_mul_f32_e32 v215, v49, v215                              // 0000000117A4: 0BAFAF31
	s_waitcnt lgkmcnt(0)                                       // 0000000117A8: BF8CC07F
	s_barrier                                                  // 0000000117AC: BF8A0000
	ds_read_b32 v64, v7 offset:16896                           // 0000000117B0: D86C4200 40000007
	ds_read_b32 v65, v7 offset:16960                           // 0000000117B8: D86C4240 41000007
	ds_read_b32 v66, v7 offset:17024                           // 0000000117C0: D86C4280 42000007
	ds_read_b32 v67, v7 offset:17088                           // 0000000117C8: D86C42C0 43000007
	ds_read_b32 v68, v7 offset:17152                           // 0000000117D0: D86C4300 44000007
	ds_read_b32 v69, v7 offset:17216                           // 0000000117D8: D86C4340 45000007
	ds_read_b32 v70, v7 offset:17280                           // 0000000117E0: D86C4380 46000007
	ds_read_b32 v71, v7 offset:17344                           // 0000000117E8: D86C43C0 47000007
	ds_read_b32 v72, v7 offset:17408                           // 0000000117F0: D86C4400 48000007
	ds_read_b32 v73, v7 offset:17472                           // 0000000117F8: D86C4440 49000007
	ds_read_b32 v74, v7 offset:17536                           // 000000011800: D86C4480 4A000007
	ds_read_b32 v75, v7 offset:17600                           // 000000011808: D86C44C0 4B000007
	ds_read_b32 v76, v7 offset:17664                           // 000000011810: D86C4500 4C000007
	ds_read_b32 v77, v7 offset:17728                           // 000000011818: D86C4540 4D000007
	ds_read_b32 v78, v7 offset:17792                           // 000000011820: D86C4580 4E000007
	ds_read_b32 v79, v7 offset:17856                           // 000000011828: D86C45C0 4F000007
	buffer_load_dwordx4 a[28:31], v25, s[16:19], 0 offen offset:1024// 000000011830: E05C1400 80841C19
	v_cvt_f32_i32_e32 v176, v176                               // 000000011838: 7F600BB0
	v_cvt_f32_i32_e32 v177, v177                               // 00000001183C: 7F620BB1
	v_cvt_f32_i32_e32 v178, v178                               // 000000011840: 7F640BB2
	v_cvt_f32_i32_e32 v179, v179                               // 000000011844: 7F660BB3
	v_cvt_f32_i32_e32 v180, v180                               // 000000011848: 7F680BB4
	v_cvt_f32_i32_e32 v181, v181                               // 00000001184C: 7F6A0BB5
	v_cvt_f32_i32_e32 v182, v182                               // 000000011850: 7F6C0BB6
	v_cvt_f32_i32_e32 v183, v183                               // 000000011854: 7F6E0BB7
	v_mul_f32_e32 v176, v44, v176                              // 000000011858: 0B61612C
	v_mul_f32_e32 v177, v44, v177                              // 00000001185C: 0B63632C
	v_mul_f32_e32 v178, v44, v178                              // 000000011860: 0B65652C
	v_mul_f32_e32 v179, v44, v179                              // 000000011864: 0B67672C
	v_mul_f32_e32 v180, v44, v180                              // 000000011868: 0B69692C
	v_mul_f32_e32 v181, v44, v181                              // 00000001186C: 0B6B6B2C
	v_mul_f32_e32 v182, v44, v182                              // 000000011870: 0B6D6D2C
	v_mul_f32_e32 v183, v44, v183                              // 000000011874: 0B6F6F2C
	s_waitcnt lgkmcnt(0)                                       // 000000011878: BF8CC07F
	v_max3_f32 v48, v64, v65, v48                              // 00000001187C: D1D30030 04C28340
	v_max3_f32 v48, v66, v67, v48                              // 000000011884: D1D30030 04C28742
	v_max3_f32 v48, v68, v69, v48                              // 00000001188C: D1D30030 04C28B44
	v_max3_f32 v48, v70, v71, v48                              // 000000011894: D1D30030 04C28F46
	v_max3_f32 v48, v72, v73, v48                              // 00000001189C: D1D30030 04C29348
	v_max3_f32 v48, v74, v75, v48                              // 0000000118A4: D1D30030 04C2974A
	v_max3_f32 v48, v76, v77, v48                              // 0000000118AC: D1D30030 04C29B4C
	v_max3_f32 v48, v78, v79, v48                              // 0000000118B4: D1D30030 04C29F4E
	buffer_load_dwordx4 a[64:67], v30, s[20:23], 0 offen       // 0000000118BC: E05C1000 8085401E
	v_mov_b32_e32 v64, 0xff800000                              // 0000000118C4: 7E8002FF FF800000
	v_cmp_eq_u32_e64 s[40:41], v64, v11                        // 0000000118CC: D0CA0028 00021740
	s_nop 1                                                    // 0000000118D4: BF800001
	v_max_f32_e32 v15, v48, v11                                // 0000000118D8: 161E1730
	v_mul_f32_e32 v53, s64, v15                                // 0000000118DC: 0A6A1E40
	v_fma_f32 v112, v112, s64, -v53                            // 0000000118E0: D1CB0070 84D48170
	v_fma_f32 v113, v113, s64, -v53                            // 0000000118E8: D1CB0071 84D48171
	v_fma_f32 v114, v114, s64, -v53                            // 0000000118F0: D1CB0072 84D48172
	v_fma_f32 v115, v115, s64, -v53                            // 0000000118F8: D1CB0073 84D48173
	v_fma_f32 v116, v116, s64, -v53                            // 000000011900: D1CB0074 84D48174
	v_fma_f32 v117, v117, s64, -v53                            // 000000011908: D1CB0075 84D48175
	v_fma_f32 v118, v118, s64, -v53                            // 000000011910: D1CB0076 84D48176
	v_fma_f32 v119, v119, s64, -v53                            // 000000011918: D1CB0077 84D48177
	v_fma_f32 v120, v120, s64, -v53                            // 000000011920: D1CB0078 84D48178
	v_fma_f32 v121, v121, s64, -v53                            // 000000011928: D1CB0079 84D48179
	v_fma_f32 v122, v122, s64, -v53                            // 000000011930: D1CB007A 84D4817A
	v_fma_f32 v123, v123, s64, -v53                            // 000000011938: D1CB007B 84D4817B
	v_fma_f32 v124, v124, s64, -v53                            // 000000011940: D1CB007C 84D4817C
	v_fma_f32 v125, v125, s64, -v53                            // 000000011948: D1CB007D 84D4817D
	v_fma_f32 v126, v126, s64, -v53                            // 000000011950: D1CB007E 84D4817E
	v_fma_f32 v127, v127, s64, -v53                            // 000000011958: D1CB007F 84D4817F
	buffer_load_dwordx4 a[68:71], v31, s[20:23], 0 offen       // 000000011960: E05C1000 8085441F
	v_exp_f32_e32 v112, v112                                   // 000000011968: 7EE04170
	v_exp_f32_e32 v113, v113                                   // 00000001196C: 7EE24171
	v_exp_f32_e32 v114, v114                                   // 000000011970: 7EE44172
	v_exp_f32_e32 v115, v115                                   // 000000011974: 7EE64173
	v_exp_f32_e32 v116, v116                                   // 000000011978: 7EE84174
	v_exp_f32_e32 v117, v117                                   // 00000001197C: 7EEA4175
	v_exp_f32_e32 v118, v118                                   // 000000011980: 7EEC4176
	v_exp_f32_e32 v119, v119                                   // 000000011984: 7EEE4177
	v_exp_f32_e32 v120, v120                                   // 000000011988: 7EF04178
	v_exp_f32_e32 v121, v121                                   // 00000001198C: 7EF24179
	v_exp_f32_e32 v122, v122                                   // 000000011990: 7EF4417A
	v_exp_f32_e32 v123, v123                                   // 000000011994: 7EF6417B
	v_exp_f32_e32 v124, v124                                   // 000000011998: 7EF8417C
	v_exp_f32_e32 v125, v125                                   // 00000001199C: 7EFA417D
	v_exp_f32_e32 v126, v126                                   // 0000000119A0: 7EFC417E
	v_exp_f32_e32 v127, v127                                   // 0000000119A4: 7EFE417F
	buffer_load_dwordx4 a[72:75], v32, s[20:23], 0 offen       // 0000000119A8: E05C1000 80854820
	v_mul_f32_dpp v240, v252, v112 quad_perm:[0,0,0,0] row_mask:0xf bank_mask:0xf// 0000000119B0: 0BE0E0FA FF0000FC
	v_mul_f32_dpp v241, v252, v113 quad_perm:[1,1,1,1] row_mask:0xf bank_mask:0xf// 0000000119B8: 0BE2E2FA FF0055FC
	v_mul_f32_dpp v242, v252, v114 quad_perm:[2,2,2,2] row_mask:0xf bank_mask:0xf// 0000000119C0: 0BE4E4FA FF00AAFC
	v_mul_f32_dpp v243, v252, v115 quad_perm:[3,3,3,3] row_mask:0xf bank_mask:0xf// 0000000119C8: 0BE6E6FA FF00FFFC
	v_mul_f32_dpp v244, v253, v116 quad_perm:[0,0,0,0] row_mask:0xf bank_mask:0xf// 0000000119D0: 0BE8E8FA FF0000FD
	v_mul_f32_dpp v245, v253, v117 quad_perm:[1,1,1,1] row_mask:0xf bank_mask:0xf// 0000000119D8: 0BEAEAFA FF0055FD
	v_mul_f32_dpp v246, v253, v118 quad_perm:[2,2,2,2] row_mask:0xf bank_mask:0xf// 0000000119E0: 0BECECFA FF00AAFD
	v_mul_f32_dpp v247, v253, v119 quad_perm:[3,3,3,3] row_mask:0xf bank_mask:0xf// 0000000119E8: 0BEEEEFA FF00FFFD
	v_mul_f32_dpp v248, v254, v120 quad_perm:[0,0,0,0] row_mask:0xf bank_mask:0xf// 0000000119F0: 0BF0F0FA FF0000FE
	v_mul_f32_dpp v249, v254, v121 quad_perm:[1,1,1,1] row_mask:0xf bank_mask:0xf// 0000000119F8: 0BF2F2FA FF0055FE
	v_mul_f32_dpp v250, v254, v122 quad_perm:[2,2,2,2] row_mask:0xf bank_mask:0xf// 000000011A00: 0BF4F4FA FF00AAFE
	v_mul_f32_dpp v251, v254, v123 quad_perm:[3,3,3,3] row_mask:0xf bank_mask:0xf// 000000011A08: 0BF6F6FA FF00FFFE
	v_mul_f32_dpp v252, v255, v124 quad_perm:[0,0,0,0] row_mask:0xf bank_mask:0xf// 000000011A10: 0BF8F8FA FF0000FF
	v_mul_f32_dpp v253, v255, v125 quad_perm:[1,1,1,1] row_mask:0xf bank_mask:0xf// 000000011A18: 0BFAFAFA FF0055FF
	v_mul_f32_dpp v254, v255, v126 quad_perm:[2,2,2,2] row_mask:0xf bank_mask:0xf// 000000011A20: 0BFCFCFA FF00AAFF
	v_mul_f32_dpp v255, v255, v127 quad_perm:[3,3,3,3] row_mask:0xf bank_mask:0xf// 000000011A28: 0BFEFEFA FF00FFFF
	v_mov_b32_e32 v48, 0x358637bd                              // 000000011A30: 7E6002FF 358637BD
	v_max3_f32 v48, |v240|, |v241|, v48                        // 000000011A38: D1D30330 04C3E3F0
	v_max3_f32 v48, |v242|, |v243|, v48                        // 000000011A40: D1D30330 04C3E7F2
	v_max3_f32 v48, |v244|, |v245|, v48                        // 000000011A48: D1D30330 04C3EBF4
	v_max3_f32 v48, |v246|, |v247|, v48                        // 000000011A50: D1D30330 04C3EFF6
	v_max3_f32 v48, |v248|, |v249|, v48                        // 000000011A58: D1D30330 04C3F3F8
	v_max3_f32 v48, |v250|, |v251|, v48                        // 000000011A60: D1D30330 04C3F7FA
	v_max3_f32 v48, |v252|, |v253|, v48                        // 000000011A68: D1D30330 04C3FBFC
	v_max3_f32 v48, |v254|, |v255|, v48                        // 000000011A70: D1D30330 04C3FFFE
	buffer_load_dwordx4 a[76:79], v33, s[20:23], 0 offen       // 000000011A78: E05C1000 80854C21
	ds_write_b32 v8, v48 offset:20992                          // 000000011A80: D81A5200 00003008
	v_sub_f32_e32 v49, v11, v15                                // 000000011A88: 04621F0B
	v_cndmask_b32_e64 v49, v49, 0, s[40:41]                    // 000000011A8C: D1000031 00A10131
	v_mov_b32_e32 v11, v15                                     // 000000011A94: 7E16030F
	v_mul_f32_e32 v49, s64, v49                                // 000000011A98: 0A626240
	v_exp_f32_e32 v49, v49                                     // 000000011A9C: 7E624131
	s_waitcnt lgkmcnt(0)                                       // 000000011AA0: BF8CC07F
	s_barrier                                                  // 000000011AA4: BF8A0000
	ds_read_b32 v64, v7 offset:20992                           // 000000011AA8: D86C5200 40000007
	ds_read_b32 v65, v7 offset:21056                           // 000000011AB0: D86C5240 41000007
	ds_read_b32 v66, v7 offset:21120                           // 000000011AB8: D86C5280 42000007
	ds_read_b32 v67, v7 offset:21184                           // 000000011AC0: D86C52C0 43000007
	ds_read_b32 v68, v7 offset:21248                           // 000000011AC8: D86C5300 44000007
	ds_read_b32 v69, v7 offset:21312                           // 000000011AD0: D86C5340 45000007
	ds_read_b32 v70, v7 offset:21376                           // 000000011AD8: D86C5380 46000007
	ds_read_b32 v71, v7 offset:21440                           // 000000011AE0: D86C53C0 47000007
	ds_read_b32 v72, v7 offset:21504                           // 000000011AE8: D86C5400 48000007
	ds_read_b32 v73, v7 offset:21568                           // 000000011AF0: D86C5440 49000007
	ds_read_b32 v74, v7 offset:21632                           // 000000011AF8: D86C5480 4A000007
	ds_read_b32 v75, v7 offset:21696                           // 000000011B00: D86C54C0 4B000007
	ds_read_b32 v76, v7 offset:21760                           // 000000011B08: D86C5500 4C000007
	ds_read_b32 v77, v7 offset:21824                           // 000000011B10: D86C5540 4D000007
	ds_read_b32 v78, v7 offset:21888                           // 000000011B18: D86C5580 4E000007
	ds_read_b32 v79, v7 offset:21952                           // 000000011B20: D86C55C0 4F000007
	v_mul_f32_e32 v38, v49, v38                                // 000000011B28: 0A4C4D31
	v_mov_b32_e32 v15, v112                                    // 000000011B2C: 7E1E0370
	v_add_f32_e32 v15, v113, v15                               // 000000011B30: 021E1F71
	v_add_f32_e32 v15, v114, v15                               // 000000011B34: 021E1F72
	v_add_f32_e32 v15, v115, v15                               // 000000011B38: 021E1F73
	v_add_f32_e32 v15, v116, v15                               // 000000011B3C: 021E1F74
	v_add_f32_e32 v15, v117, v15                               // 000000011B40: 021E1F75
	v_add_f32_e32 v15, v118, v15                               // 000000011B44: 021E1F76
	v_add_f32_e32 v15, v119, v15                               // 000000011B48: 021E1F77
	v_add_f32_e32 v15, v120, v15                               // 000000011B4C: 021E1F78
	v_add_f32_e32 v15, v121, v15                               // 000000011B50: 021E1F79
	v_add_f32_e32 v15, v122, v15                               // 000000011B54: 021E1F7A
	v_add_f32_e32 v15, v123, v15                               // 000000011B58: 021E1F7B
	v_add_f32_e32 v15, v124, v15                               // 000000011B5C: 021E1F7C
	v_add_f32_e32 v15, v125, v15                               // 000000011B60: 021E1F7D
	v_add_f32_e32 v15, v126, v15                               // 000000011B64: 021E1F7E
	v_add_f32_e32 v15, v127, v15                               // 000000011B68: 021E1F7F
	v_add_f32_e32 v38, v15, v38                                // 000000011B6C: 024C4D0F
	s_waitcnt lgkmcnt(0)                                       // 000000011B70: BF8CC07F
	v_max3_f32 v48, |v64|, |v65|, v48                          // 000000011B74: D1D30330 04C28340
	v_max3_f32 v48, |v66|, |v67|, v48                          // 000000011B7C: D1D30330 04C28742
	v_max3_f32 v48, |v68|, |v69|, v48                          // 000000011B84: D1D30330 04C28B44
	v_max3_f32 v48, |v70|, |v71|, v48                          // 000000011B8C: D1D30330 04C28F46
	v_max3_f32 v48, |v72|, |v73|, v48                          // 000000011B94: D1D30330 04C29348
	v_max3_f32 v48, |v74|, |v75|, v48                          // 000000011B9C: D1D30330 04C2974A
	v_max3_f32 v48, |v76|, |v77|, v48                          // 000000011BA4: D1D30330 04C29B4C
	v_max3_f32 v48, |v78|, |v79|, v48                          // 000000011BAC: D1D30330 04C29F4E
	s_nop 2                                                    // 000000011BB4: BF800002
	v_rcp_f32_e32 v48, v48                                     // 000000011BB8: 7E604530
	s_nop 1                                                    // 000000011BBC: BF800001
	v_mul_f32_e32 v48, 0x42fe0000, v48                         // 000000011BC0: 0A6060FF 42FE0000
	v_mul_f32_e32 v112, v48, v240                              // 000000011BC8: 0AE1E130
	v_mul_f32_e32 v113, v48, v241                              // 000000011BCC: 0AE3E330
	v_mul_f32_e32 v114, v48, v242                              // 000000011BD0: 0AE5E530
	v_mul_f32_e32 v115, v48, v243                              // 000000011BD4: 0AE7E730
	v_mul_f32_e32 v116, v48, v244                              // 000000011BD8: 0AE9E930
	v_mul_f32_e32 v117, v48, v245                              // 000000011BDC: 0AEBEB30
	v_mul_f32_e32 v118, v48, v246                              // 000000011BE0: 0AEDED30
	v_mul_f32_e32 v119, v48, v247                              // 000000011BE4: 0AEFEF30
	v_mul_f32_e32 v120, v48, v248                              // 000000011BE8: 0AF1F130
	v_mul_f32_e32 v121, v48, v249                              // 000000011BEC: 0AF3F330
	v_mul_f32_e32 v122, v48, v250                              // 000000011BF0: 0AF5F530
	v_mul_f32_e32 v123, v48, v251                              // 000000011BF4: 0AF7F730
	v_mul_f32_e32 v124, v48, v252                              // 000000011BF8: 0AF9F930
	v_mul_f32_e32 v125, v48, v253                              // 000000011BFC: 0AFBFB30
	v_mul_f32_e32 v126, v48, v254                              // 000000011C00: 0AFDFD30
	v_mul_f32_e32 v127, v48, v255                              // 000000011C04: 0AFFFF30
	v_cvt_i32_f32_e32 v112, v112                               // 000000011C08: 7EE01170
	v_cvt_i32_f32_e32 v113, v113                               // 000000011C0C: 7EE21171
	v_cvt_i32_f32_e32 v114, v114                               // 000000011C10: 7EE41172
	v_cvt_i32_f32_e32 v115, v115                               // 000000011C14: 7EE61173
	v_cvt_i32_f32_e32 v116, v116                               // 000000011C18: 7EE81174
	v_cvt_i32_f32_e32 v117, v117                               // 000000011C1C: 7EEA1175
	v_cvt_i32_f32_e32 v118, v118                               // 000000011C20: 7EEC1176
	v_cvt_i32_f32_e32 v119, v119                               // 000000011C24: 7EEE1177
	v_cvt_i32_f32_e32 v120, v120                               // 000000011C28: 7EF01178
	v_cvt_i32_f32_e32 v121, v121                               // 000000011C2C: 7EF21179
	v_cvt_i32_f32_e32 v122, v122                               // 000000011C30: 7EF4117A
	v_cvt_i32_f32_e32 v123, v123                               // 000000011C34: 7EF6117B
	v_cvt_i32_f32_e32 v124, v124                               // 000000011C38: 7EF8117C
	v_cvt_i32_f32_e32 v125, v125                               // 000000011C3C: 7EFA117D
	v_cvt_i32_f32_e32 v126, v126                               // 000000011C40: 7EFC117E
	v_cvt_i32_f32_e32 v127, v127                               // 000000011C44: 7EFE117F
	v_perm_b32 v112, v113, v112, s53                           // 000000011C48: D1ED0070 00D6E171
	v_perm_b32 v112, v114, v112, s54                           // 000000011C50: D1ED0070 00DAE172
	v_perm_b32 v112, v115, v112, s55                           // 000000011C58: D1ED0070 00DEE173
	v_perm_b32 v113, v117, v116, s53                           // 000000011C60: D1ED0071 00D6E975
	v_perm_b32 v113, v118, v113, s54                           // 000000011C68: D1ED0071 00DAE376
	v_perm_b32 v113, v119, v113, s55                           // 000000011C70: D1ED0071 00DEE377
	v_perm_b32 v114, v121, v120, s53                           // 000000011C78: D1ED0072 00D6F179
	v_perm_b32 v114, v122, v114, s54                           // 000000011C80: D1ED0072 00DAE57A
	v_perm_b32 v114, v123, v114, s55                           // 000000011C88: D1ED0072 00DEE57B
	v_perm_b32 v115, v125, v124, s53                           // 000000011C90: D1ED0073 00D6F97D
	v_perm_b32 v115, v126, v115, s54                           // 000000011C98: D1ED0073 00DAE77E
	v_perm_b32 v115, v127, v115, s55                           // 000000011CA0: D1ED0073 00DEE77F
	ds_write_b32 v10, v112 offset:25088                        // 000000011CA8: D81A6200 0000700A
	ds_write_b32 v10, v113 offset:26112                        // 000000011CB0: D81A6600 0000710A
	ds_write_b32 v10, v114 offset:27136                        // 000000011CB8: D81A6A00 0000720A
	ds_write_b32 v10, v115 offset:28160                        // 000000011CC0: D81A6E00 0000730A
	v_add_f32_e32 v208, v208, v176                             // 000000011CC8: 03A161D0
	v_add_f32_e32 v209, v209, v177                             // 000000011CCC: 03A363D1
	v_add_f32_e32 v210, v210, v178                             // 000000011CD0: 03A565D2
	v_add_f32_e32 v211, v211, v179                             // 000000011CD4: 03A767D3
	v_add_f32_e32 v212, v212, v180                             // 000000011CD8: 03A969D4
	v_add_f32_e32 v213, v213, v181                             // 000000011CDC: 03AB6BD5
	v_add_f32_e32 v214, v214, v182                             // 000000011CE0: 03AD6DD6
	v_add_f32_e32 v215, v215, v183                             // 000000011CE4: 03AF6FD7
	v_rcp_f32_e32 v44, v48                                     // 000000011CE8: 7E584530
	s_waitcnt lgkmcnt(0)                                       // 000000011CEC: BF8CC07F
	s_barrier                                                  // 000000011CF0: BF8A0000
	ds_read_b64 v[112:113], v9 offset:25088                    // 000000011CF4: D8EC6200 70000009
	ds_read_b64 v[114:115], v9 offset:25216                    // 000000011CFC: D8EC6280 72000009
	ds_read_b64 v[116:117], v9 offset:26112                    // 000000011D04: D8EC6600 74000009
	ds_read_b64 v[118:119], v9 offset:26240                    // 000000011D0C: D8EC6680 76000009
	ds_read_b64 v[120:121], v9 offset:27136                    // 000000011D14: D8EC6A00 78000009
	ds_read_b64 v[122:123], v9 offset:27264                    // 000000011D1C: D8EC6A80 7A000009
	ds_read_b64 v[124:125], v9 offset:28160                    // 000000011D24: D8EC6E00 7C000009
	ds_read_b64 v[126:127], v9 offset:28288                    // 000000011D2C: D8EC6E80 7E000009
	v_mov_b32_dpp v64, v43 row_shr:4 row_mask:0xf bank_mask:0xf// 000000011D34: 7E8002FA FF01142B
	v_mov_b32_dpp v65, v43 row_shl:4 row_mask:0xf bank_mask:0xf// 000000011D3C: 7E8202FA FF01042B
	v_cndmask_b32_e64 v248, v43, v64, s[44:45]                 // 000000011D44: D10000F8 00B2812B
	v_cndmask_b32_e64 v249, v65, v43, s[44:45]                 // 000000011D4C: D10000F9 00B25741
	v_mov_b32_dpp v64, v248 row_shr:8 row_mask:0xf bank_mask:0xf// 000000011D54: 7E8002FA FF0118F8
	v_mov_b32_dpp v65, v248 row_shl:8 row_mask:0xf bank_mask:0xf// 000000011D5C: 7E8202FA FF0108F8
	v_mov_b32_dpp v66, v249 row_shr:8 row_mask:0xf bank_mask:0xf// 000000011D64: 7E8402FA FF0118F9
	v_mov_b32_dpp v67, v249 row_shl:8 row_mask:0xf bank_mask:0xf// 000000011D6C: 7E8602FA FF0108F9
	v_mov_b32_e32 v68, v248                                    // 000000011D74: 7E8803F8
	v_mov_b32_e32 v69, v249                                    // 000000011D78: 7E8A03F9
	v_cndmask_b32_e64 v248, v68, v64, s[42:43]                 // 000000011D7C: D10000F8 00AA8144
	v_cndmask_b32_e64 v250, v68, v65, s[78:79]                 // 000000011D84: D10000FA 013A8344
	v_cndmask_b32_e64 v249, v69, v66, s[42:43]                 // 000000011D8C: D10000F9 00AA8545
	v_cndmask_b32_e64 v251, v69, v67, s[78:79]                 // 000000011D94: D10000FB 013A8745
	v_mov_b32_dpp v64, v58 row_shr:4 row_mask:0xf bank_mask:0xf// 000000011D9C: 7E8002FA FF01143A
	v_mov_b32_dpp v65, v58 row_shl:4 row_mask:0xf bank_mask:0xf// 000000011DA4: 7E8202FA FF01043A
	v_cndmask_b32_e64 v252, v58, v64, s[44:45]                 // 000000011DAC: D10000FC 00B2813A
	v_cndmask_b32_e64 v253, v65, v58, s[44:45]                 // 000000011DB4: D10000FD 00B27541
	v_mov_b32_dpp v64, v252 row_shr:8 row_mask:0xf bank_mask:0xf// 000000011DBC: 7E8002FA FF0118FC
	v_mov_b32_dpp v65, v252 row_shl:8 row_mask:0xf bank_mask:0xf// 000000011DC4: 7E8202FA FF0108FC
	v_mov_b32_dpp v66, v253 row_shr:8 row_mask:0xf bank_mask:0xf// 000000011DCC: 7E8402FA FF0118FD
	v_mov_b32_dpp v67, v253 row_shl:8 row_mask:0xf bank_mask:0xf// 000000011DD4: 7E8602FA FF0108FD
	v_mov_b32_e32 v68, v252                                    // 000000011DDC: 7E8803FC
	v_mov_b32_e32 v69, v253                                    // 000000011DE0: 7E8A03FD
	v_cndmask_b32_e64 v252, v68, v64, s[42:43]                 // 000000011DE4: D10000FC 00AA8144
	v_cndmask_b32_e64 v254, v68, v65, s[78:79]                 // 000000011DEC: D10000FE 013A8344
	v_cndmask_b32_e64 v253, v69, v66, s[42:43]                 // 000000011DF4: D10000FD 00AA8545
	v_cndmask_b32_e64 v255, v69, v67, s[78:79]                 // 000000011DFC: D10000FF 013A8745
	v_cvt_f32_i32_e32 v128, v128                               // 000000011E04: 7F000B80
	v_cvt_f32_i32_e32 v129, v129                               // 000000011E08: 7F020B81
	v_cvt_f32_i32_e32 v130, v130                               // 000000011E0C: 7F040B82
	v_cvt_f32_i32_e32 v131, v131                               // 000000011E10: 7F060B83
	v_cvt_f32_i32_e32 v132, v132                               // 000000011E14: 7F080B84
	v_cvt_f32_i32_e32 v133, v133                               // 000000011E18: 7F0A0B85
	v_cvt_f32_i32_e32 v134, v134                               // 000000011E1C: 7F0C0B86
	v_cvt_f32_i32_e32 v135, v135                               // 000000011E20: 7F0E0B87
	v_cvt_f32_i32_e32 v136, v136                               // 000000011E24: 7F100B88
	v_cvt_f32_i32_e32 v137, v137                               // 000000011E28: 7F120B89
	v_cvt_f32_i32_e32 v138, v138                               // 000000011E2C: 7F140B8A
	v_cvt_f32_i32_e32 v139, v139                               // 000000011E30: 7F160B8B
	v_cvt_f32_i32_e32 v140, v140                               // 000000011E34: 7F180B8C
	v_cvt_f32_i32_e32 v141, v141                               // 000000011E38: 7F1A0B8D
	v_cvt_f32_i32_e32 v142, v142                               // 000000011E3C: 7F1C0B8E
	v_cvt_f32_i32_e32 v143, v143                               // 000000011E40: 7F1E0B8F
	v_mul_f32_e32 v128, v19, v128                              // 000000011E44: 0B010113
	v_mul_f32_e32 v129, v19, v129                              // 000000011E48: 0B030313
	v_mul_f32_e32 v130, v19, v130                              // 000000011E4C: 0B050513
	v_mul_f32_e32 v131, v19, v131                              // 000000011E50: 0B070713
	v_mul_f32_e32 v132, v19, v132                              // 000000011E54: 0B090913
	v_mul_f32_e32 v133, v19, v133                              // 000000011E58: 0B0B0B13
	v_mul_f32_e32 v134, v19, v134                              // 000000011E5C: 0B0D0D13
	v_mul_f32_e32 v135, v19, v135                              // 000000011E60: 0B0F0F13
	v_mul_f32_e32 v136, v19, v136                              // 000000011E64: 0B111113
	v_mul_f32_e32 v137, v19, v137                              // 000000011E68: 0B131313
	v_mul_f32_e32 v138, v19, v138                              // 000000011E6C: 0B151513
	v_mul_f32_e32 v139, v19, v139                              // 000000011E70: 0B171713
	v_mul_f32_e32 v140, v19, v140                              // 000000011E74: 0B191913
	v_mul_f32_e32 v141, v19, v141                              // 000000011E78: 0B1B1B13
	v_mul_f32_e32 v142, v19, v142                              // 000000011E7C: 0B1D1D13
	v_mul_f32_e32 v143, v19, v143                              // 000000011E80: 0B1F1F13
	v_mul_f32_dpp v128, v248, v128 quad_perm:[0,0,0,0] row_mask:0xf bank_mask:0xf// 000000011E84: 0B0100FA FF0000F8
	v_mul_f32_dpp v129, v248, v129 quad_perm:[1,1,1,1] row_mask:0xf bank_mask:0xf// 000000011E8C: 0B0302FA FF0055F8
	v_mul_f32_dpp v130, v248, v130 quad_perm:[2,2,2,2] row_mask:0xf bank_mask:0xf// 000000011E94: 0B0504FA FF00AAF8
	v_mul_f32_dpp v131, v248, v131 quad_perm:[3,3,3,3] row_mask:0xf bank_mask:0xf// 000000011E9C: 0B0706FA FF00FFF8
	v_mul_f32_dpp v132, v249, v132 quad_perm:[0,0,0,0] row_mask:0xf bank_mask:0xf// 000000011EA4: 0B0908FA FF0000F9
	v_mul_f32_dpp v133, v249, v133 quad_perm:[1,1,1,1] row_mask:0xf bank_mask:0xf// 000000011EAC: 0B0B0AFA FF0055F9
	v_mul_f32_dpp v134, v249, v134 quad_perm:[2,2,2,2] row_mask:0xf bank_mask:0xf// 000000011EB4: 0B0D0CFA FF00AAF9
	v_mul_f32_dpp v135, v249, v135 quad_perm:[3,3,3,3] row_mask:0xf bank_mask:0xf// 000000011EBC: 0B0F0EFA FF00FFF9
	v_mul_f32_dpp v136, v250, v136 quad_perm:[0,0,0,0] row_mask:0xf bank_mask:0xf// 000000011EC4: 0B1110FA FF0000FA
	v_mul_f32_dpp v137, v250, v137 quad_perm:[1,1,1,1] row_mask:0xf bank_mask:0xf// 000000011ECC: 0B1312FA FF0055FA
	v_mul_f32_dpp v138, v250, v138 quad_perm:[2,2,2,2] row_mask:0xf bank_mask:0xf// 000000011ED4: 0B1514FA FF00AAFA
	v_mul_f32_dpp v139, v250, v139 quad_perm:[3,3,3,3] row_mask:0xf bank_mask:0xf// 000000011EDC: 0B1716FA FF00FFFA
	v_mul_f32_dpp v140, v251, v140 quad_perm:[0,0,0,0] row_mask:0xf bank_mask:0xf// 000000011EE4: 0B1918FA FF0000FB
	v_mul_f32_dpp v141, v251, v141 quad_perm:[1,1,1,1] row_mask:0xf bank_mask:0xf// 000000011EEC: 0B1B1AFA FF0055FB
	v_mul_f32_dpp v142, v251, v142 quad_perm:[2,2,2,2] row_mask:0xf bank_mask:0xf// 000000011EF4: 0B1D1CFA FF00AAFB
	v_mul_f32_dpp v143, v251, v143 quad_perm:[3,3,3,3] row_mask:0xf bank_mask:0xf// 000000011EFC: 0B1F1EFA FF00FFFB
	v_mov_b32_e32 v48, v128                                    // 000000011F04: 7E600380
	v_max3_f32 v48, v128, v129, v48                            // 000000011F08: D1D30030 04C30380
	v_max3_f32 v48, v130, v131, v48                            // 000000011F10: D1D30030 04C30782
	v_max3_f32 v48, v132, v133, v48                            // 000000011F18: D1D30030 04C30B84
	v_max3_f32 v48, v134, v135, v48                            // 000000011F20: D1D30030 04C30F86
	v_max3_f32 v48, v136, v137, v48                            // 000000011F28: D1D30030 04C31388
	v_max3_f32 v48, v138, v139, v48                            // 000000011F30: D1D30030 04C3178A
	v_max3_f32 v48, v140, v141, v48                            // 000000011F38: D1D30030 04C31B8C
	v_max3_f32 v48, v142, v143, v48                            // 000000011F40: D1D30030 04C31F8E
	ds_write_b32 v8, v48 offset:16896                          // 000000011F48: D81A4200 00003008
	v_mul_f32_e32 v216, v50, v216                              // 000000011F50: 0BB1B132
	v_mul_f32_e32 v217, v50, v217                              // 000000011F54: 0BB3B332
	v_mul_f32_e32 v218, v50, v218                              // 000000011F58: 0BB5B532
	v_mul_f32_e32 v219, v50, v219                              // 000000011F5C: 0BB7B732
	v_mul_f32_e32 v220, v50, v220                              // 000000011F60: 0BB9B932
	v_mul_f32_e32 v221, v50, v221                              // 000000011F64: 0BBBBB32
	v_mul_f32_e32 v222, v50, v222                              // 000000011F68: 0BBDBD32
	v_mul_f32_e32 v223, v50, v223                              // 000000011F6C: 0BBFBF32
	s_waitcnt lgkmcnt(0)                                       // 000000011F70: BF8CC07F
	s_barrier                                                  // 000000011F74: BF8A0000
	ds_read_b32 v64, v7 offset:16896                           // 000000011F78: D86C4200 40000007
	ds_read_b32 v65, v7 offset:16960                           // 000000011F80: D86C4240 41000007
	ds_read_b32 v66, v7 offset:17024                           // 000000011F88: D86C4280 42000007
	ds_read_b32 v67, v7 offset:17088                           // 000000011F90: D86C42C0 43000007
	ds_read_b32 v68, v7 offset:17152                           // 000000011F98: D86C4300 44000007
	ds_read_b32 v69, v7 offset:17216                           // 000000011FA0: D86C4340 45000007
	ds_read_b32 v70, v7 offset:17280                           // 000000011FA8: D86C4380 46000007
	ds_read_b32 v71, v7 offset:17344                           // 000000011FB0: D86C43C0 47000007
	ds_read_b32 v72, v7 offset:17408                           // 000000011FB8: D86C4400 48000007
	ds_read_b32 v73, v7 offset:17472                           // 000000011FC0: D86C4440 49000007
	ds_read_b32 v74, v7 offset:17536                           // 000000011FC8: D86C4480 4A000007
	ds_read_b32 v75, v7 offset:17600                           // 000000011FD0: D86C44C0 4B000007
	ds_read_b32 v76, v7 offset:17664                           // 000000011FD8: D86C4500 4C000007
	ds_read_b32 v77, v7 offset:17728                           // 000000011FE0: D86C4540 4D000007
	ds_read_b32 v78, v7 offset:17792                           // 000000011FE8: D86C4580 4E000007
	ds_read_b32 v79, v7 offset:17856                           // 000000011FF0: D86C45C0 4F000007
	v_cvt_f32_i32_e32 v184, v184                               // 000000011FF8: 7F700BB8
	v_cvt_f32_i32_e32 v185, v185                               // 000000011FFC: 7F720BB9
	v_cvt_f32_i32_e32 v186, v186                               // 000000012000: 7F740BBA
	v_cvt_f32_i32_e32 v187, v187                               // 000000012004: 7F760BBB
	v_cvt_f32_i32_e32 v188, v188                               // 000000012008: 7F780BBC
	v_cvt_f32_i32_e32 v189, v189                               // 00000001200C: 7F7A0BBD
	v_cvt_f32_i32_e32 v190, v190                               // 000000012010: 7F7C0BBE
	v_cvt_f32_i32_e32 v191, v191                               // 000000012014: 7F7E0BBF
	v_mul_f32_e32 v184, v45, v184                              // 000000012018: 0B71712D
	v_mul_f32_e32 v185, v45, v185                              // 00000001201C: 0B73732D
	v_mul_f32_e32 v186, v45, v186                              // 000000012020: 0B75752D
	v_mul_f32_e32 v187, v45, v187                              // 000000012024: 0B77772D
	v_mul_f32_e32 v188, v45, v188                              // 000000012028: 0B79792D
	v_mul_f32_e32 v189, v45, v189                              // 00000001202C: 0B7B7B2D
	v_mul_f32_e32 v190, v45, v190                              // 000000012030: 0B7D7D2D
	v_mul_f32_e32 v191, v45, v191                              // 000000012034: 0B7F7F2D
	s_waitcnt lgkmcnt(0)                                       // 000000012038: BF8CC07F
	v_max3_f32 v48, v64, v65, v48                              // 00000001203C: D1D30030 04C28340
	v_max3_f32 v48, v66, v67, v48                              // 000000012044: D1D30030 04C28742
	v_max3_f32 v48, v68, v69, v48                              // 00000001204C: D1D30030 04C28B44
	v_max3_f32 v48, v70, v71, v48                              // 000000012054: D1D30030 04C28F46
	v_max3_f32 v48, v72, v73, v48                              // 00000001205C: D1D30030 04C29348
	v_max3_f32 v48, v74, v75, v48                              // 000000012064: D1D30030 04C2974A
	v_max3_f32 v48, v76, v77, v48                              // 00000001206C: D1D30030 04C29B4C
	v_max3_f32 v48, v78, v79, v48                              // 000000012074: D1D30030 04C29F4E
	v_mov_b32_e32 v64, 0xff800000                              // 00000001207C: 7E8002FF FF800000
	v_cmp_eq_u32_e64 s[40:41], v64, v12                        // 000000012084: D0CA0028 00021940
	s_nop 1                                                    // 00000001208C: BF800001
	v_max_f32_e32 v15, v48, v12                                // 000000012090: 161E1930
	v_mul_f32_e32 v53, s64, v15                                // 000000012094: 0A6A1E40
	v_fma_f32 v128, v128, s64, -v53                            // 000000012098: D1CB0080 84D48180
	v_fma_f32 v129, v129, s64, -v53                            // 0000000120A0: D1CB0081 84D48181
	v_fma_f32 v130, v130, s64, -v53                            // 0000000120A8: D1CB0082 84D48182
	v_fma_f32 v131, v131, s64, -v53                            // 0000000120B0: D1CB0083 84D48183
	v_fma_f32 v132, v132, s64, -v53                            // 0000000120B8: D1CB0084 84D48184
	v_fma_f32 v133, v133, s64, -v53                            // 0000000120C0: D1CB0085 84D48185
	v_fma_f32 v134, v134, s64, -v53                            // 0000000120C8: D1CB0086 84D48186
	v_fma_f32 v135, v135, s64, -v53                            // 0000000120D0: D1CB0087 84D48187
	v_fma_f32 v136, v136, s64, -v53                            // 0000000120D8: D1CB0088 84D48188
	v_fma_f32 v137, v137, s64, -v53                            // 0000000120E0: D1CB0089 84D48189
	v_fma_f32 v138, v138, s64, -v53                            // 0000000120E8: D1CB008A 84D4818A
	v_fma_f32 v139, v139, s64, -v53                            // 0000000120F0: D1CB008B 84D4818B
	v_fma_f32 v140, v140, s64, -v53                            // 0000000120F8: D1CB008C 84D4818C
	v_fma_f32 v141, v141, s64, -v53                            // 000000012100: D1CB008D 84D4818D
	v_fma_f32 v142, v142, s64, -v53                            // 000000012108: D1CB008E 84D4818E
	v_fma_f32 v143, v143, s64, -v53                            // 000000012110: D1CB008F 84D4818F
	v_exp_f32_e32 v128, v128                                   // 000000012118: 7F004180
	v_exp_f32_e32 v129, v129                                   // 00000001211C: 7F024181
	v_exp_f32_e32 v130, v130                                   // 000000012120: 7F044182
	v_exp_f32_e32 v131, v131                                   // 000000012124: 7F064183
	v_exp_f32_e32 v132, v132                                   // 000000012128: 7F084184
	v_exp_f32_e32 v133, v133                                   // 00000001212C: 7F0A4185
	v_exp_f32_e32 v134, v134                                   // 000000012130: 7F0C4186
	v_exp_f32_e32 v135, v135                                   // 000000012134: 7F0E4187
	v_exp_f32_e32 v136, v136                                   // 000000012138: 7F104188
	v_exp_f32_e32 v137, v137                                   // 00000001213C: 7F124189
	v_exp_f32_e32 v138, v138                                   // 000000012140: 7F14418A
	v_exp_f32_e32 v139, v139                                   // 000000012144: 7F16418B
	v_exp_f32_e32 v140, v140                                   // 000000012148: 7F18418C
	v_exp_f32_e32 v141, v141                                   // 00000001214C: 7F1A418D
	v_exp_f32_e32 v142, v142                                   // 000000012150: 7F1C418E
	v_exp_f32_e32 v143, v143                                   // 000000012154: 7F1E418F
	v_mul_f32_dpp v240, v252, v128 quad_perm:[0,0,0,0] row_mask:0xf bank_mask:0xf// 000000012158: 0BE100FA FF0000FC
	v_mul_f32_dpp v241, v252, v129 quad_perm:[1,1,1,1] row_mask:0xf bank_mask:0xf// 000000012160: 0BE302FA FF0055FC
	v_mul_f32_dpp v242, v252, v130 quad_perm:[2,2,2,2] row_mask:0xf bank_mask:0xf// 000000012168: 0BE504FA FF00AAFC
	v_mul_f32_dpp v243, v252, v131 quad_perm:[3,3,3,3] row_mask:0xf bank_mask:0xf// 000000012170: 0BE706FA FF00FFFC
	v_mul_f32_dpp v244, v253, v132 quad_perm:[0,0,0,0] row_mask:0xf bank_mask:0xf// 000000012178: 0BE908FA FF0000FD
	v_mul_f32_dpp v245, v253, v133 quad_perm:[1,1,1,1] row_mask:0xf bank_mask:0xf// 000000012180: 0BEB0AFA FF0055FD
	v_mul_f32_dpp v246, v253, v134 quad_perm:[2,2,2,2] row_mask:0xf bank_mask:0xf// 000000012188: 0BED0CFA FF00AAFD
	v_mul_f32_dpp v247, v253, v135 quad_perm:[3,3,3,3] row_mask:0xf bank_mask:0xf// 000000012190: 0BEF0EFA FF00FFFD
	v_mul_f32_dpp v248, v254, v136 quad_perm:[0,0,0,0] row_mask:0xf bank_mask:0xf// 000000012198: 0BF110FA FF0000FE
	v_mul_f32_dpp v249, v254, v137 quad_perm:[1,1,1,1] row_mask:0xf bank_mask:0xf// 0000000121A0: 0BF312FA FF0055FE
	v_mul_f32_dpp v250, v254, v138 quad_perm:[2,2,2,2] row_mask:0xf bank_mask:0xf// 0000000121A8: 0BF514FA FF00AAFE
	v_mul_f32_dpp v251, v254, v139 quad_perm:[3,3,3,3] row_mask:0xf bank_mask:0xf// 0000000121B0: 0BF716FA FF00FFFE
	v_mul_f32_dpp v252, v255, v140 quad_perm:[0,0,0,0] row_mask:0xf bank_mask:0xf// 0000000121B8: 0BF918FA FF0000FF
	v_mul_f32_dpp v253, v255, v141 quad_perm:[1,1,1,1] row_mask:0xf bank_mask:0xf// 0000000121C0: 0BFB1AFA FF0055FF
	v_mul_f32_dpp v254, v255, v142 quad_perm:[2,2,2,2] row_mask:0xf bank_mask:0xf// 0000000121C8: 0BFD1CFA FF00AAFF
	v_mul_f32_dpp v255, v255, v143 quad_perm:[3,3,3,3] row_mask:0xf bank_mask:0xf// 0000000121D0: 0BFF1EFA FF00FFFF
	v_mov_b32_e32 v48, 0x358637bd                              // 0000000121D8: 7E6002FF 358637BD
	v_max3_f32 v48, |v240|, |v241|, v48                        // 0000000121E0: D1D30330 04C3E3F0
	v_max3_f32 v48, |v242|, |v243|, v48                        // 0000000121E8: D1D30330 04C3E7F2
	v_max3_f32 v48, |v244|, |v245|, v48                        // 0000000121F0: D1D30330 04C3EBF4
	v_max3_f32 v48, |v246|, |v247|, v48                        // 0000000121F8: D1D30330 04C3EFF6
	v_max3_f32 v48, |v248|, |v249|, v48                        // 000000012200: D1D30330 04C3F3F8
	v_max3_f32 v48, |v250|, |v251|, v48                        // 000000012208: D1D30330 04C3F7FA
	v_max3_f32 v48, |v252|, |v253|, v48                        // 000000012210: D1D30330 04C3FBFC
	v_max3_f32 v48, |v254|, |v255|, v48                        // 000000012218: D1D30330 04C3FFFE
	ds_write_b32 v8, v48 offset:20992                          // 000000012220: D81A5200 00003008
	v_sub_f32_e32 v50, v12, v15                                // 000000012228: 04641F0C
	v_cndmask_b32_e64 v50, v50, 0, s[40:41]                    // 00000001222C: D1000032 00A10132
	v_mov_b32_e32 v12, v15                                     // 000000012234: 7E18030F
	v_mul_f32_e32 v50, s64, v50                                // 000000012238: 0A646440
	v_exp_f32_e32 v50, v50                                     // 00000001223C: 7E644132
	s_waitcnt lgkmcnt(0)                                       // 000000012240: BF8CC07F
	s_barrier                                                  // 000000012244: BF8A0000
	ds_read_b32 v64, v7 offset:20992                           // 000000012248: D86C5200 40000007
	ds_read_b32 v65, v7 offset:21056                           // 000000012250: D86C5240 41000007
	ds_read_b32 v66, v7 offset:21120                           // 000000012258: D86C5280 42000007
	ds_read_b32 v67, v7 offset:21184                           // 000000012260: D86C52C0 43000007
	ds_read_b32 v68, v7 offset:21248                           // 000000012268: D86C5300 44000007
	ds_read_b32 v69, v7 offset:21312                           // 000000012270: D86C5340 45000007
	ds_read_b32 v70, v7 offset:21376                           // 000000012278: D86C5380 46000007
	ds_read_b32 v71, v7 offset:21440                           // 000000012280: D86C53C0 47000007
	ds_read_b32 v72, v7 offset:21504                           // 000000012288: D86C5400 48000007
	ds_read_b32 v73, v7 offset:21568                           // 000000012290: D86C5440 49000007
	ds_read_b32 v74, v7 offset:21632                           // 000000012298: D86C5480 4A000007
	ds_read_b32 v75, v7 offset:21696                           // 0000000122A0: D86C54C0 4B000007
	ds_read_b32 v76, v7 offset:21760                           // 0000000122A8: D86C5500 4C000007
	ds_read_b32 v77, v7 offset:21824                           // 0000000122B0: D86C5540 4D000007
	ds_read_b32 v78, v7 offset:21888                           // 0000000122B8: D86C5580 4E000007
	ds_read_b32 v79, v7 offset:21952                           // 0000000122C0: D86C55C0 4F000007
	v_mul_f32_e32 v39, v50, v39                                // 0000000122C8: 0A4E4F32
	v_mov_b32_e32 v15, v128                                    // 0000000122CC: 7E1E0380
	v_add_f32_e32 v15, v129, v15                               // 0000000122D0: 021E1F81
	v_add_f32_e32 v15, v130, v15                               // 0000000122D4: 021E1F82
	v_add_f32_e32 v15, v131, v15                               // 0000000122D8: 021E1F83
	v_add_f32_e32 v15, v132, v15                               // 0000000122DC: 021E1F84
	v_add_f32_e32 v15, v133, v15                               // 0000000122E0: 021E1F85
	v_add_f32_e32 v15, v134, v15                               // 0000000122E4: 021E1F86
	v_add_f32_e32 v15, v135, v15                               // 0000000122E8: 021E1F87
	v_add_f32_e32 v15, v136, v15                               // 0000000122EC: 021E1F88
	v_add_f32_e32 v15, v137, v15                               // 0000000122F0: 021E1F89
	v_add_f32_e32 v15, v138, v15                               // 0000000122F4: 021E1F8A
	v_add_f32_e32 v15, v139, v15                               // 0000000122F8: 021E1F8B
	v_add_f32_e32 v15, v140, v15                               // 0000000122FC: 021E1F8C
	v_add_f32_e32 v15, v141, v15                               // 000000012300: 021E1F8D
	v_add_f32_e32 v15, v142, v15                               // 000000012304: 021E1F8E
	v_add_f32_e32 v15, v143, v15                               // 000000012308: 021E1F8F
	v_add_f32_e32 v39, v15, v39                                // 00000001230C: 024E4F0F
	s_waitcnt lgkmcnt(0)                                       // 000000012310: BF8CC07F
	v_max3_f32 v48, |v64|, |v65|, v48                          // 000000012314: D1D30330 04C28340
	v_max3_f32 v48, |v66|, |v67|, v48                          // 00000001231C: D1D30330 04C28742
	v_max3_f32 v48, |v68|, |v69|, v48                          // 000000012324: D1D30330 04C28B44
	v_max3_f32 v48, |v70|, |v71|, v48                          // 00000001232C: D1D30330 04C28F46
	v_max3_f32 v48, |v72|, |v73|, v48                          // 000000012334: D1D30330 04C29348
	v_max3_f32 v48, |v74|, |v75|, v48                          // 00000001233C: D1D30330 04C2974A
	v_max3_f32 v48, |v76|, |v77|, v48                          // 000000012344: D1D30330 04C29B4C
	v_max3_f32 v48, |v78|, |v79|, v48                          // 00000001234C: D1D30330 04C29F4E
	s_nop 2                                                    // 000000012354: BF800002
	v_rcp_f32_e32 v48, v48                                     // 000000012358: 7E604530
	s_nop 1                                                    // 00000001235C: BF800001
	v_mul_f32_e32 v48, 0x42fe0000, v48                         // 000000012360: 0A6060FF 42FE0000
	v_mul_f32_e32 v128, v48, v240                              // 000000012368: 0B01E130
	v_mul_f32_e32 v129, v48, v241                              // 00000001236C: 0B03E330
	v_mul_f32_e32 v130, v48, v242                              // 000000012370: 0B05E530
	v_mul_f32_e32 v131, v48, v243                              // 000000012374: 0B07E730
	v_mul_f32_e32 v132, v48, v244                              // 000000012378: 0B09E930
	v_mul_f32_e32 v133, v48, v245                              // 00000001237C: 0B0BEB30
	v_mul_f32_e32 v134, v48, v246                              // 000000012380: 0B0DED30
	v_mul_f32_e32 v135, v48, v247                              // 000000012384: 0B0FEF30
	v_mul_f32_e32 v136, v48, v248                              // 000000012388: 0B11F130
	v_mul_f32_e32 v137, v48, v249                              // 00000001238C: 0B13F330
	v_mul_f32_e32 v138, v48, v250                              // 000000012390: 0B15F530
	v_mul_f32_e32 v139, v48, v251                              // 000000012394: 0B17F730
	v_mul_f32_e32 v140, v48, v252                              // 000000012398: 0B19F930
	v_mul_f32_e32 v141, v48, v253                              // 00000001239C: 0B1BFB30
	v_mul_f32_e32 v142, v48, v254                              // 0000000123A0: 0B1DFD30
	v_mul_f32_e32 v143, v48, v255                              // 0000000123A4: 0B1FFF30
	v_cvt_i32_f32_e32 v128, v128                               // 0000000123A8: 7F001180
	v_cvt_i32_f32_e32 v129, v129                               // 0000000123AC: 7F021181
	v_cvt_i32_f32_e32 v130, v130                               // 0000000123B0: 7F041182
	v_cvt_i32_f32_e32 v131, v131                               // 0000000123B4: 7F061183
	v_cvt_i32_f32_e32 v132, v132                               // 0000000123B8: 7F081184
	v_cvt_i32_f32_e32 v133, v133                               // 0000000123BC: 7F0A1185
	v_cvt_i32_f32_e32 v134, v134                               // 0000000123C0: 7F0C1186
	v_cvt_i32_f32_e32 v135, v135                               // 0000000123C4: 7F0E1187
	v_cvt_i32_f32_e32 v136, v136                               // 0000000123C8: 7F101188
	v_cvt_i32_f32_e32 v137, v137                               // 0000000123CC: 7F121189
	v_cvt_i32_f32_e32 v138, v138                               // 0000000123D0: 7F14118A
	v_cvt_i32_f32_e32 v139, v139                               // 0000000123D4: 7F16118B
	v_cvt_i32_f32_e32 v140, v140                               // 0000000123D8: 7F18118C
	v_cvt_i32_f32_e32 v141, v141                               // 0000000123DC: 7F1A118D
	v_cvt_i32_f32_e32 v142, v142                               // 0000000123E0: 7F1C118E
	v_cvt_i32_f32_e32 v143, v143                               // 0000000123E4: 7F1E118F
	v_perm_b32 v128, v129, v128, s53                           // 0000000123E8: D1ED0080 00D70181
	v_perm_b32 v128, v130, v128, s54                           // 0000000123F0: D1ED0080 00DB0182
	v_perm_b32 v128, v131, v128, s55                           // 0000000123F8: D1ED0080 00DF0183
	v_perm_b32 v129, v133, v132, s53                           // 000000012400: D1ED0081 00D70985
	v_perm_b32 v129, v134, v129, s54                           // 000000012408: D1ED0081 00DB0386
	v_perm_b32 v129, v135, v129, s55                           // 000000012410: D1ED0081 00DF0387
	v_perm_b32 v130, v137, v136, s53                           // 000000012418: D1ED0082 00D71189
	v_perm_b32 v130, v138, v130, s54                           // 000000012420: D1ED0082 00DB058A
	v_perm_b32 v130, v139, v130, s55                           // 000000012428: D1ED0082 00DF058B
	v_perm_b32 v131, v141, v140, s53                           // 000000012430: D1ED0083 00D7198D
	v_perm_b32 v131, v142, v131, s54                           // 000000012438: D1ED0083 00DB078E
	v_perm_b32 v131, v143, v131, s55                           // 000000012440: D1ED0083 00DF078F
	ds_write_b32 v10, v128 offset:29184                        // 000000012448: D81A7200 0000800A
	ds_write_b32 v10, v129 offset:30208                        // 000000012450: D81A7600 0000810A
	ds_write_b32 v10, v130 offset:31232                        // 000000012458: D81A7A00 0000820A
	ds_write_b32 v10, v131 offset:32256                        // 000000012460: D81A7E00 0000830A
	v_add_f32_e32 v216, v216, v184                             // 000000012468: 03B171D8
	v_add_f32_e32 v217, v217, v185                             // 00000001246C: 03B373D9
	v_add_f32_e32 v218, v218, v186                             // 000000012470: 03B575DA
	v_add_f32_e32 v219, v219, v187                             // 000000012474: 03B777DB
	v_add_f32_e32 v220, v220, v188                             // 000000012478: 03B979DC
	v_add_f32_e32 v221, v221, v189                             // 00000001247C: 03BB7BDD
	v_add_f32_e32 v222, v222, v190                             // 000000012480: 03BD7DDE
	v_add_f32_e32 v223, v223, v191                             // 000000012484: 03BF7FDF
	v_rcp_f32_e32 v45, v48                                     // 000000012488: 7E5A4530
	s_waitcnt lgkmcnt(0)                                       // 00000001248C: BF8CC07F
	s_barrier                                                  // 000000012490: BF8A0000
	ds_read_b64 v[128:129], v9 offset:29184                    // 000000012494: D8EC7200 80000009
	ds_read_b64 v[130:131], v9 offset:29312                    // 00000001249C: D8EC7280 82000009
	ds_read_b64 v[132:133], v9 offset:30208                    // 0000000124A4: D8EC7600 84000009
	ds_read_b64 v[134:135], v9 offset:30336                    // 0000000124AC: D8EC7680 86000009
	ds_read_b64 v[136:137], v9 offset:31232                    // 0000000124B4: D8EC7A00 88000009
	ds_read_b64 v[138:139], v9 offset:31360                    // 0000000124BC: D8EC7A80 8A000009
	ds_read_b64 v[140:141], v9 offset:32256                    // 0000000124C4: D8EC7E00 8C000009
	ds_read_b64 v[142:143], v9 offset:32384                    // 0000000124CC: D8EC7E80 8E000009
	v_mov_b32_dpp v64, v43 row_shr:4 row_mask:0xf bank_mask:0xf// 0000000124D4: 7E8002FA FF01142B
	v_mov_b32_dpp v65, v43 row_shl:4 row_mask:0xf bank_mask:0xf// 0000000124DC: 7E8202FA FF01042B
	v_cndmask_b32_e64 v248, v43, v64, s[44:45]                 // 0000000124E4: D10000F8 00B2812B
	v_cndmask_b32_e64 v249, v65, v43, s[44:45]                 // 0000000124EC: D10000F9 00B25741
	v_mov_b32_dpp v64, v248 row_shr:8 row_mask:0xf bank_mask:0xf// 0000000124F4: 7E8002FA FF0118F8
	v_mov_b32_dpp v65, v248 row_shl:8 row_mask:0xf bank_mask:0xf// 0000000124FC: 7E8202FA FF0108F8
	v_mov_b32_dpp v66, v249 row_shr:8 row_mask:0xf bank_mask:0xf// 000000012504: 7E8402FA FF0118F9
	v_mov_b32_dpp v67, v249 row_shl:8 row_mask:0xf bank_mask:0xf// 00000001250C: 7E8602FA FF0108F9
	v_mov_b32_e32 v68, v248                                    // 000000012514: 7E8803F8
	v_mov_b32_e32 v69, v249                                    // 000000012518: 7E8A03F9
	v_cndmask_b32_e64 v248, v68, v64, s[42:43]                 // 00000001251C: D10000F8 00AA8144
	v_cndmask_b32_e64 v250, v68, v65, s[78:79]                 // 000000012524: D10000FA 013A8344
	v_cndmask_b32_e64 v249, v69, v66, s[42:43]                 // 00000001252C: D10000F9 00AA8545
	v_cndmask_b32_e64 v251, v69, v67, s[78:79]                 // 000000012534: D10000FB 013A8745
	v_mov_b32_dpp v64, v58 row_shr:4 row_mask:0xf bank_mask:0xf// 00000001253C: 7E8002FA FF01143A
	v_mov_b32_dpp v65, v58 row_shl:4 row_mask:0xf bank_mask:0xf// 000000012544: 7E8202FA FF01043A
	v_cndmask_b32_e64 v252, v58, v64, s[44:45]                 // 00000001254C: D10000FC 00B2813A
	v_cndmask_b32_e64 v253, v65, v58, s[44:45]                 // 000000012554: D10000FD 00B27541
	v_mov_b32_dpp v64, v252 row_shr:8 row_mask:0xf bank_mask:0xf// 00000001255C: 7E8002FA FF0118FC
	v_mov_b32_dpp v65, v252 row_shl:8 row_mask:0xf bank_mask:0xf// 000000012564: 7E8202FA FF0108FC
	v_mov_b32_dpp v66, v253 row_shr:8 row_mask:0xf bank_mask:0xf// 00000001256C: 7E8402FA FF0118FD
	v_mov_b32_dpp v67, v253 row_shl:8 row_mask:0xf bank_mask:0xf// 000000012574: 7E8602FA FF0108FD
	v_mov_b32_e32 v68, v252                                    // 00000001257C: 7E8803FC
	v_mov_b32_e32 v69, v253                                    // 000000012580: 7E8A03FD
	v_cndmask_b32_e64 v252, v68, v64, s[42:43]                 // 000000012584: D10000FC 00AA8144
	v_cndmask_b32_e64 v254, v68, v65, s[78:79]                 // 00000001258C: D10000FE 013A8344
	v_cndmask_b32_e64 v253, v69, v66, s[42:43]                 // 000000012594: D10000FD 00AA8545
	v_cndmask_b32_e64 v255, v69, v67, s[78:79]                 // 00000001259C: D10000FF 013A8745
	v_cvt_f32_i32_e32 v144, v144                               // 0000000125A4: 7F200B90
	v_cvt_f32_i32_e32 v145, v145                               // 0000000125A8: 7F220B91
	v_cvt_f32_i32_e32 v146, v146                               // 0000000125AC: 7F240B92
	v_cvt_f32_i32_e32 v147, v147                               // 0000000125B0: 7F260B93
	v_cvt_f32_i32_e32 v148, v148                               // 0000000125B4: 7F280B94
	v_cvt_f32_i32_e32 v149, v149                               // 0000000125B8: 7F2A0B95
	v_cvt_f32_i32_e32 v150, v150                               // 0000000125BC: 7F2C0B96
	v_cvt_f32_i32_e32 v151, v151                               // 0000000125C0: 7F2E0B97
	v_cvt_f32_i32_e32 v152, v152                               // 0000000125C4: 7F300B98
	v_cvt_f32_i32_e32 v153, v153                               // 0000000125C8: 7F320B99
	v_cvt_f32_i32_e32 v154, v154                               // 0000000125CC: 7F340B9A
	v_cvt_f32_i32_e32 v155, v155                               // 0000000125D0: 7F360B9B
	v_cvt_f32_i32_e32 v156, v156                               // 0000000125D4: 7F380B9C
	v_cvt_f32_i32_e32 v157, v157                               // 0000000125D8: 7F3A0B9D
	v_cvt_f32_i32_e32 v158, v158                               // 0000000125DC: 7F3C0B9E
	v_cvt_f32_i32_e32 v159, v159                               // 0000000125E0: 7F3E0B9F
	v_mul_f32_e32 v144, v20, v144                              // 0000000125E4: 0B212114
	v_mul_f32_e32 v145, v20, v145                              // 0000000125E8: 0B232314
	v_mul_f32_e32 v146, v20, v146                              // 0000000125EC: 0B252514
	v_mul_f32_e32 v147, v20, v147                              // 0000000125F0: 0B272714
	v_mul_f32_e32 v148, v20, v148                              // 0000000125F4: 0B292914
	v_mul_f32_e32 v149, v20, v149                              // 0000000125F8: 0B2B2B14
	v_mul_f32_e32 v150, v20, v150                              // 0000000125FC: 0B2D2D14
	v_mul_f32_e32 v151, v20, v151                              // 000000012600: 0B2F2F14
	v_mul_f32_e32 v152, v20, v152                              // 000000012604: 0B313114
	v_mul_f32_e32 v153, v20, v153                              // 000000012608: 0B333314
	v_mul_f32_e32 v154, v20, v154                              // 00000001260C: 0B353514
	v_mul_f32_e32 v155, v20, v155                              // 000000012610: 0B373714
	v_mul_f32_e32 v156, v20, v156                              // 000000012614: 0B393914
	v_mul_f32_e32 v157, v20, v157                              // 000000012618: 0B3B3B14
	v_mul_f32_e32 v158, v20, v158                              // 00000001261C: 0B3D3D14
	v_mul_f32_e32 v159, v20, v159                              // 000000012620: 0B3F3F14
	v_mul_f32_dpp v144, v248, v144 quad_perm:[0,0,0,0] row_mask:0xf bank_mask:0xf// 000000012624: 0B2120FA FF0000F8
	v_mul_f32_dpp v145, v248, v145 quad_perm:[1,1,1,1] row_mask:0xf bank_mask:0xf// 00000001262C: 0B2322FA FF0055F8
	v_mul_f32_dpp v146, v248, v146 quad_perm:[2,2,2,2] row_mask:0xf bank_mask:0xf// 000000012634: 0B2524FA FF00AAF8
	v_mul_f32_dpp v147, v248, v147 quad_perm:[3,3,3,3] row_mask:0xf bank_mask:0xf// 00000001263C: 0B2726FA FF00FFF8
	v_mul_f32_dpp v148, v249, v148 quad_perm:[0,0,0,0] row_mask:0xf bank_mask:0xf// 000000012644: 0B2928FA FF0000F9
	v_mul_f32_dpp v149, v249, v149 quad_perm:[1,1,1,1] row_mask:0xf bank_mask:0xf// 00000001264C: 0B2B2AFA FF0055F9
	v_mul_f32_dpp v150, v249, v150 quad_perm:[2,2,2,2] row_mask:0xf bank_mask:0xf// 000000012654: 0B2D2CFA FF00AAF9
	v_mul_f32_dpp v151, v249, v151 quad_perm:[3,3,3,3] row_mask:0xf bank_mask:0xf// 00000001265C: 0B2F2EFA FF00FFF9
	v_mul_f32_dpp v152, v250, v152 quad_perm:[0,0,0,0] row_mask:0xf bank_mask:0xf// 000000012664: 0B3130FA FF0000FA
	v_mul_f32_dpp v153, v250, v153 quad_perm:[1,1,1,1] row_mask:0xf bank_mask:0xf// 00000001266C: 0B3332FA FF0055FA
	v_mul_f32_dpp v154, v250, v154 quad_perm:[2,2,2,2] row_mask:0xf bank_mask:0xf// 000000012674: 0B3534FA FF00AAFA
	v_mul_f32_dpp v155, v250, v155 quad_perm:[3,3,3,3] row_mask:0xf bank_mask:0xf// 00000001267C: 0B3736FA FF00FFFA
	v_mul_f32_dpp v156, v251, v156 quad_perm:[0,0,0,0] row_mask:0xf bank_mask:0xf// 000000012684: 0B3938FA FF0000FB
	v_mul_f32_dpp v157, v251, v157 quad_perm:[1,1,1,1] row_mask:0xf bank_mask:0xf// 00000001268C: 0B3B3AFA FF0055FB
	v_mul_f32_dpp v158, v251, v158 quad_perm:[2,2,2,2] row_mask:0xf bank_mask:0xf// 000000012694: 0B3D3CFA FF00AAFB
	v_mul_f32_dpp v159, v251, v159 quad_perm:[3,3,3,3] row_mask:0xf bank_mask:0xf// 00000001269C: 0B3F3EFA FF00FFFB
	v_mov_b32_e32 v48, v144                                    // 0000000126A4: 7E600390
	v_max3_f32 v48, v144, v145, v48                            // 0000000126A8: D1D30030 04C32390
	v_max3_f32 v48, v146, v147, v48                            // 0000000126B0: D1D30030 04C32792
	v_max3_f32 v48, v148, v149, v48                            // 0000000126B8: D1D30030 04C32B94
	v_max3_f32 v48, v150, v151, v48                            // 0000000126C0: D1D30030 04C32F96
	v_max3_f32 v48, v152, v153, v48                            // 0000000126C8: D1D30030 04C33398
	v_max3_f32 v48, v154, v155, v48                            // 0000000126D0: D1D30030 04C3379A
	v_max3_f32 v48, v156, v157, v48                            // 0000000126D8: D1D30030 04C33B9C
	v_max3_f32 v48, v158, v159, v48                            // 0000000126E0: D1D30030 04C33F9E
	ds_write_b32 v8, v48 offset:16896                          // 0000000126E8: D81A4200 00003008
	v_mul_f32_e32 v224, v51, v224                              // 0000000126F0: 0BC1C133
	v_mul_f32_e32 v225, v51, v225                              // 0000000126F4: 0BC3C333
	v_mul_f32_e32 v226, v51, v226                              // 0000000126F8: 0BC5C533
	v_mul_f32_e32 v227, v51, v227                              // 0000000126FC: 0BC7C733
	v_mul_f32_e32 v228, v51, v228                              // 000000012700: 0BC9C933
	v_mul_f32_e32 v229, v51, v229                              // 000000012704: 0BCBCB33
	v_mul_f32_e32 v230, v51, v230                              // 000000012708: 0BCDCD33
	v_mul_f32_e32 v231, v51, v231                              // 00000001270C: 0BCFCF33
	s_waitcnt lgkmcnt(0)                                       // 000000012710: BF8CC07F
	s_barrier                                                  // 000000012714: BF8A0000
	ds_read_b32 v64, v7 offset:16896                           // 000000012718: D86C4200 40000007
	ds_read_b32 v65, v7 offset:16960                           // 000000012720: D86C4240 41000007
	ds_read_b32 v66, v7 offset:17024                           // 000000012728: D86C4280 42000007
	ds_read_b32 v67, v7 offset:17088                           // 000000012730: D86C42C0 43000007
	ds_read_b32 v68, v7 offset:17152                           // 000000012738: D86C4300 44000007
	ds_read_b32 v69, v7 offset:17216                           // 000000012740: D86C4340 45000007
	ds_read_b32 v70, v7 offset:17280                           // 000000012748: D86C4380 46000007
	ds_read_b32 v71, v7 offset:17344                           // 000000012750: D86C43C0 47000007
	ds_read_b32 v72, v7 offset:17408                           // 000000012758: D86C4400 48000007
	ds_read_b32 v73, v7 offset:17472                           // 000000012760: D86C4440 49000007
	ds_read_b32 v74, v7 offset:17536                           // 000000012768: D86C4480 4A000007
	ds_read_b32 v75, v7 offset:17600                           // 000000012770: D86C44C0 4B000007
	ds_read_b32 v76, v7 offset:17664                           // 000000012778: D86C4500 4C000007
	ds_read_b32 v77, v7 offset:17728                           // 000000012780: D86C4540 4D000007
	ds_read_b32 v78, v7 offset:17792                           // 000000012788: D86C4580 4E000007
	ds_read_b32 v79, v7 offset:17856                           // 000000012790: D86C45C0 4F000007
	v_cvt_f32_i32_e32 v192, v192                               // 000000012798: 7F800BC0
	v_cvt_f32_i32_e32 v193, v193                               // 00000001279C: 7F820BC1
	v_cvt_f32_i32_e32 v194, v194                               // 0000000127A0: 7F840BC2
	v_cvt_f32_i32_e32 v195, v195                               // 0000000127A4: 7F860BC3
	v_cvt_f32_i32_e32 v196, v196                               // 0000000127A8: 7F880BC4
	v_cvt_f32_i32_e32 v197, v197                               // 0000000127AC: 7F8A0BC5
	v_cvt_f32_i32_e32 v198, v198                               // 0000000127B0: 7F8C0BC6
	v_cvt_f32_i32_e32 v199, v199                               // 0000000127B4: 7F8E0BC7
	v_mul_f32_e32 v192, v46, v192                              // 0000000127B8: 0B81812E
	v_mul_f32_e32 v193, v46, v193                              // 0000000127BC: 0B83832E
	v_mul_f32_e32 v194, v46, v194                              // 0000000127C0: 0B85852E
	v_mul_f32_e32 v195, v46, v195                              // 0000000127C4: 0B87872E
	v_mul_f32_e32 v196, v46, v196                              // 0000000127C8: 0B89892E
	v_mul_f32_e32 v197, v46, v197                              // 0000000127CC: 0B8B8B2E
	v_mul_f32_e32 v198, v46, v198                              // 0000000127D0: 0B8D8D2E
	v_mul_f32_e32 v199, v46, v199                              // 0000000127D4: 0B8F8F2E
	s_waitcnt lgkmcnt(0)                                       // 0000000127D8: BF8CC07F
	v_max3_f32 v48, v64, v65, v48                              // 0000000127DC: D1D30030 04C28340
	v_max3_f32 v48, v66, v67, v48                              // 0000000127E4: D1D30030 04C28742
	v_max3_f32 v48, v68, v69, v48                              // 0000000127EC: D1D30030 04C28B44
	v_max3_f32 v48, v70, v71, v48                              // 0000000127F4: D1D30030 04C28F46
	v_max3_f32 v48, v72, v73, v48                              // 0000000127FC: D1D30030 04C29348
	v_max3_f32 v48, v74, v75, v48                              // 000000012804: D1D30030 04C2974A
	v_max3_f32 v48, v76, v77, v48                              // 00000001280C: D1D30030 04C29B4C
	v_max3_f32 v48, v78, v79, v48                              // 000000012814: D1D30030 04C29F4E
	v_mov_b32_e32 v64, 0xff800000                              // 00000001281C: 7E8002FF FF800000
	v_cmp_eq_u32_e64 s[40:41], v64, v13                        // 000000012824: D0CA0028 00021B40
	s_nop 1                                                    // 00000001282C: BF800001
	v_max_f32_e32 v15, v48, v13                                // 000000012830: 161E1B30
	v_mul_f32_e32 v53, s64, v15                                // 000000012834: 0A6A1E40
	v_fma_f32 v144, v144, s64, -v53                            // 000000012838: D1CB0090 84D48190
	v_fma_f32 v145, v145, s64, -v53                            // 000000012840: D1CB0091 84D48191
	v_fma_f32 v146, v146, s64, -v53                            // 000000012848: D1CB0092 84D48192
	v_fma_f32 v147, v147, s64, -v53                            // 000000012850: D1CB0093 84D48193
	v_fma_f32 v148, v148, s64, -v53                            // 000000012858: D1CB0094 84D48194
	v_fma_f32 v149, v149, s64, -v53                            // 000000012860: D1CB0095 84D48195
	v_fma_f32 v150, v150, s64, -v53                            // 000000012868: D1CB0096 84D48196
	v_fma_f32 v151, v151, s64, -v53                            // 000000012870: D1CB0097 84D48197
	v_fma_f32 v152, v152, s64, -v53                            // 000000012878: D1CB0098 84D48198
	v_fma_f32 v153, v153, s64, -v53                            // 000000012880: D1CB0099 84D48199
	v_fma_f32 v154, v154, s64, -v53                            // 000000012888: D1CB009A 84D4819A
	v_fma_f32 v155, v155, s64, -v53                            // 000000012890: D1CB009B 84D4819B
	v_fma_f32 v156, v156, s64, -v53                            // 000000012898: D1CB009C 84D4819C
	v_fma_f32 v157, v157, s64, -v53                            // 0000000128A0: D1CB009D 84D4819D
	v_fma_f32 v158, v158, s64, -v53                            // 0000000128A8: D1CB009E 84D4819E
	v_fma_f32 v159, v159, s64, -v53                            // 0000000128B0: D1CB009F 84D4819F
	v_exp_f32_e32 v144, v144                                   // 0000000128B8: 7F204190
	v_exp_f32_e32 v145, v145                                   // 0000000128BC: 7F224191
	v_exp_f32_e32 v146, v146                                   // 0000000128C0: 7F244192
	v_exp_f32_e32 v147, v147                                   // 0000000128C4: 7F264193
	v_exp_f32_e32 v148, v148                                   // 0000000128C8: 7F284194
	v_exp_f32_e32 v149, v149                                   // 0000000128CC: 7F2A4195
	v_exp_f32_e32 v150, v150                                   // 0000000128D0: 7F2C4196
	v_exp_f32_e32 v151, v151                                   // 0000000128D4: 7F2E4197
	v_exp_f32_e32 v152, v152                                   // 0000000128D8: 7F304198
	v_exp_f32_e32 v153, v153                                   // 0000000128DC: 7F324199
	v_exp_f32_e32 v154, v154                                   // 0000000128E0: 7F34419A
	v_exp_f32_e32 v155, v155                                   // 0000000128E4: 7F36419B
	v_exp_f32_e32 v156, v156                                   // 0000000128E8: 7F38419C
	v_exp_f32_e32 v157, v157                                   // 0000000128EC: 7F3A419D
	v_exp_f32_e32 v158, v158                                   // 0000000128F0: 7F3C419E
	v_exp_f32_e32 v159, v159                                   // 0000000128F4: 7F3E419F
	v_mul_f32_dpp v240, v252, v144 quad_perm:[0,0,0,0] row_mask:0xf bank_mask:0xf// 0000000128F8: 0BE120FA FF0000FC
	v_mul_f32_dpp v241, v252, v145 quad_perm:[1,1,1,1] row_mask:0xf bank_mask:0xf// 000000012900: 0BE322FA FF0055FC
	v_mul_f32_dpp v242, v252, v146 quad_perm:[2,2,2,2] row_mask:0xf bank_mask:0xf// 000000012908: 0BE524FA FF00AAFC
	v_mul_f32_dpp v243, v252, v147 quad_perm:[3,3,3,3] row_mask:0xf bank_mask:0xf// 000000012910: 0BE726FA FF00FFFC
	v_mul_f32_dpp v244, v253, v148 quad_perm:[0,0,0,0] row_mask:0xf bank_mask:0xf// 000000012918: 0BE928FA FF0000FD
	v_mul_f32_dpp v245, v253, v149 quad_perm:[1,1,1,1] row_mask:0xf bank_mask:0xf// 000000012920: 0BEB2AFA FF0055FD
	v_mul_f32_dpp v246, v253, v150 quad_perm:[2,2,2,2] row_mask:0xf bank_mask:0xf// 000000012928: 0BED2CFA FF00AAFD
	v_mul_f32_dpp v247, v253, v151 quad_perm:[3,3,3,3] row_mask:0xf bank_mask:0xf// 000000012930: 0BEF2EFA FF00FFFD
	v_mul_f32_dpp v248, v254, v152 quad_perm:[0,0,0,0] row_mask:0xf bank_mask:0xf// 000000012938: 0BF130FA FF0000FE
	v_mul_f32_dpp v249, v254, v153 quad_perm:[1,1,1,1] row_mask:0xf bank_mask:0xf// 000000012940: 0BF332FA FF0055FE
	v_mul_f32_dpp v250, v254, v154 quad_perm:[2,2,2,2] row_mask:0xf bank_mask:0xf// 000000012948: 0BF534FA FF00AAFE
	v_mul_f32_dpp v251, v254, v155 quad_perm:[3,3,3,3] row_mask:0xf bank_mask:0xf// 000000012950: 0BF736FA FF00FFFE
	v_mul_f32_dpp v252, v255, v156 quad_perm:[0,0,0,0] row_mask:0xf bank_mask:0xf// 000000012958: 0BF938FA FF0000FF
	v_mul_f32_dpp v253, v255, v157 quad_perm:[1,1,1,1] row_mask:0xf bank_mask:0xf// 000000012960: 0BFB3AFA FF0055FF
	v_mul_f32_dpp v254, v255, v158 quad_perm:[2,2,2,2] row_mask:0xf bank_mask:0xf// 000000012968: 0BFD3CFA FF00AAFF
	v_mul_f32_dpp v255, v255, v159 quad_perm:[3,3,3,3] row_mask:0xf bank_mask:0xf// 000000012970: 0BFF3EFA FF00FFFF
	v_mov_b32_e32 v48, 0x358637bd                              // 000000012978: 7E6002FF 358637BD
	v_max3_f32 v48, |v240|, |v241|, v48                        // 000000012980: D1D30330 04C3E3F0
	v_max3_f32 v48, |v242|, |v243|, v48                        // 000000012988: D1D30330 04C3E7F2
	v_max3_f32 v48, |v244|, |v245|, v48                        // 000000012990: D1D30330 04C3EBF4
	v_max3_f32 v48, |v246|, |v247|, v48                        // 000000012998: D1D30330 04C3EFF6
	v_max3_f32 v48, |v248|, |v249|, v48                        // 0000000129A0: D1D30330 04C3F3F8
	v_max3_f32 v48, |v250|, |v251|, v48                        // 0000000129A8: D1D30330 04C3F7FA
	v_max3_f32 v48, |v252|, |v253|, v48                        // 0000000129B0: D1D30330 04C3FBFC
	v_max3_f32 v48, |v254|, |v255|, v48                        // 0000000129B8: D1D30330 04C3FFFE
	ds_write_b32 v8, v48 offset:20992                          // 0000000129C0: D81A5200 00003008
	v_sub_f32_e32 v51, v13, v15                                // 0000000129C8: 04661F0D
	v_cndmask_b32_e64 v51, v51, 0, s[40:41]                    // 0000000129CC: D1000033 00A10133
	v_mov_b32_e32 v13, v15                                     // 0000000129D4: 7E1A030F
	v_mul_f32_e32 v51, s64, v51                                // 0000000129D8: 0A666640
	v_exp_f32_e32 v51, v51                                     // 0000000129DC: 7E664133
	s_waitcnt lgkmcnt(0)                                       // 0000000129E0: BF8CC07F
	s_barrier                                                  // 0000000129E4: BF8A0000
	ds_read_b32 v64, v7 offset:20992                           // 0000000129E8: D86C5200 40000007
	ds_read_b32 v65, v7 offset:21056                           // 0000000129F0: D86C5240 41000007
	ds_read_b32 v66, v7 offset:21120                           // 0000000129F8: D86C5280 42000007
	ds_read_b32 v67, v7 offset:21184                           // 000000012A00: D86C52C0 43000007
	ds_read_b32 v68, v7 offset:21248                           // 000000012A08: D86C5300 44000007
	ds_read_b32 v69, v7 offset:21312                           // 000000012A10: D86C5340 45000007
	ds_read_b32 v70, v7 offset:21376                           // 000000012A18: D86C5380 46000007
	ds_read_b32 v71, v7 offset:21440                           // 000000012A20: D86C53C0 47000007
	ds_read_b32 v72, v7 offset:21504                           // 000000012A28: D86C5400 48000007
	ds_read_b32 v73, v7 offset:21568                           // 000000012A30: D86C5440 49000007
	ds_read_b32 v74, v7 offset:21632                           // 000000012A38: D86C5480 4A000007
	ds_read_b32 v75, v7 offset:21696                           // 000000012A40: D86C54C0 4B000007
	ds_read_b32 v76, v7 offset:21760                           // 000000012A48: D86C5500 4C000007
	ds_read_b32 v77, v7 offset:21824                           // 000000012A50: D86C5540 4D000007
	ds_read_b32 v78, v7 offset:21888                           // 000000012A58: D86C5580 4E000007
	ds_read_b32 v79, v7 offset:21952                           // 000000012A60: D86C55C0 4F000007
	v_mul_f32_e32 v40, v51, v40                                // 000000012A68: 0A505133
	v_mov_b32_e32 v15, v144                                    // 000000012A6C: 7E1E0390
	v_add_f32_e32 v15, v145, v15                               // 000000012A70: 021E1F91
	v_add_f32_e32 v15, v146, v15                               // 000000012A74: 021E1F92
	v_add_f32_e32 v15, v147, v15                               // 000000012A78: 021E1F93
	v_add_f32_e32 v15, v148, v15                               // 000000012A7C: 021E1F94
	v_add_f32_e32 v15, v149, v15                               // 000000012A80: 021E1F95
	v_add_f32_e32 v15, v150, v15                               // 000000012A84: 021E1F96
	v_add_f32_e32 v15, v151, v15                               // 000000012A88: 021E1F97
	v_add_f32_e32 v15, v152, v15                               // 000000012A8C: 021E1F98
	v_add_f32_e32 v15, v153, v15                               // 000000012A90: 021E1F99
	v_add_f32_e32 v15, v154, v15                               // 000000012A94: 021E1F9A
	v_add_f32_e32 v15, v155, v15                               // 000000012A98: 021E1F9B
	v_add_f32_e32 v15, v156, v15                               // 000000012A9C: 021E1F9C
	v_add_f32_e32 v15, v157, v15                               // 000000012AA0: 021E1F9D
	v_add_f32_e32 v15, v158, v15                               // 000000012AA4: 021E1F9E
	v_add_f32_e32 v15, v159, v15                               // 000000012AA8: 021E1F9F
	v_add_f32_e32 v40, v15, v40                                // 000000012AAC: 0250510F
	s_waitcnt lgkmcnt(0)                                       // 000000012AB0: BF8CC07F
	v_max3_f32 v48, |v64|, |v65|, v48                          // 000000012AB4: D1D30330 04C28340
	v_max3_f32 v48, |v66|, |v67|, v48                          // 000000012ABC: D1D30330 04C28742
	v_max3_f32 v48, |v68|, |v69|, v48                          // 000000012AC4: D1D30330 04C28B44
	v_max3_f32 v48, |v70|, |v71|, v48                          // 000000012ACC: D1D30330 04C28F46
	v_max3_f32 v48, |v72|, |v73|, v48                          // 000000012AD4: D1D30330 04C29348
	v_max3_f32 v48, |v74|, |v75|, v48                          // 000000012ADC: D1D30330 04C2974A
	v_max3_f32 v48, |v76|, |v77|, v48                          // 000000012AE4: D1D30330 04C29B4C
	v_max3_f32 v48, |v78|, |v79|, v48                          // 000000012AEC: D1D30330 04C29F4E
	s_nop 2                                                    // 000000012AF4: BF800002
	v_rcp_f32_e32 v48, v48                                     // 000000012AF8: 7E604530
	s_nop 1                                                    // 000000012AFC: BF800001
	v_mul_f32_e32 v48, 0x42fe0000, v48                         // 000000012B00: 0A6060FF 42FE0000
	v_mul_f32_e32 v144, v48, v240                              // 000000012B08: 0B21E130
	v_mul_f32_e32 v145, v48, v241                              // 000000012B0C: 0B23E330
	v_mul_f32_e32 v146, v48, v242                              // 000000012B10: 0B25E530
	v_mul_f32_e32 v147, v48, v243                              // 000000012B14: 0B27E730
	v_mul_f32_e32 v148, v48, v244                              // 000000012B18: 0B29E930
	v_mul_f32_e32 v149, v48, v245                              // 000000012B1C: 0B2BEB30
	v_mul_f32_e32 v150, v48, v246                              // 000000012B20: 0B2DED30
	v_mul_f32_e32 v151, v48, v247                              // 000000012B24: 0B2FEF30
	v_mul_f32_e32 v152, v48, v248                              // 000000012B28: 0B31F130
	v_mul_f32_e32 v153, v48, v249                              // 000000012B2C: 0B33F330
	v_mul_f32_e32 v154, v48, v250                              // 000000012B30: 0B35F530
	v_mul_f32_e32 v155, v48, v251                              // 000000012B34: 0B37F730
	v_mul_f32_e32 v156, v48, v252                              // 000000012B38: 0B39F930
	v_mul_f32_e32 v157, v48, v253                              // 000000012B3C: 0B3BFB30
	v_mul_f32_e32 v158, v48, v254                              // 000000012B40: 0B3DFD30
	v_mul_f32_e32 v159, v48, v255                              // 000000012B44: 0B3FFF30
	v_cvt_i32_f32_e32 v144, v144                               // 000000012B48: 7F201190
	v_cvt_i32_f32_e32 v145, v145                               // 000000012B4C: 7F221191
	v_cvt_i32_f32_e32 v146, v146                               // 000000012B50: 7F241192
	v_cvt_i32_f32_e32 v147, v147                               // 000000012B54: 7F261193
	v_cvt_i32_f32_e32 v148, v148                               // 000000012B58: 7F281194
	v_cvt_i32_f32_e32 v149, v149                               // 000000012B5C: 7F2A1195
	v_cvt_i32_f32_e32 v150, v150                               // 000000012B60: 7F2C1196
	v_cvt_i32_f32_e32 v151, v151                               // 000000012B64: 7F2E1197
	v_cvt_i32_f32_e32 v152, v152                               // 000000012B68: 7F301198
	v_cvt_i32_f32_e32 v153, v153                               // 000000012B6C: 7F321199
	v_cvt_i32_f32_e32 v154, v154                               // 000000012B70: 7F34119A
	v_cvt_i32_f32_e32 v155, v155                               // 000000012B74: 7F36119B
	v_cvt_i32_f32_e32 v156, v156                               // 000000012B78: 7F38119C
	v_cvt_i32_f32_e32 v157, v157                               // 000000012B7C: 7F3A119D
	v_cvt_i32_f32_e32 v158, v158                               // 000000012B80: 7F3C119E
	v_cvt_i32_f32_e32 v159, v159                               // 000000012B84: 7F3E119F
	v_perm_b32 v144, v145, v144, s53                           // 000000012B88: D1ED0090 00D72191
	v_perm_b32 v144, v146, v144, s54                           // 000000012B90: D1ED0090 00DB2192
	v_perm_b32 v144, v147, v144, s55                           // 000000012B98: D1ED0090 00DF2193
	v_perm_b32 v145, v149, v148, s53                           // 000000012BA0: D1ED0091 00D72995
	v_perm_b32 v145, v150, v145, s54                           // 000000012BA8: D1ED0091 00DB2396
	v_perm_b32 v145, v151, v145, s55                           // 000000012BB0: D1ED0091 00DF2397
	v_perm_b32 v146, v153, v152, s53                           // 000000012BB8: D1ED0092 00D73199
	v_perm_b32 v146, v154, v146, s54                           // 000000012BC0: D1ED0092 00DB259A
	v_perm_b32 v146, v155, v146, s55                           // 000000012BC8: D1ED0092 00DF259B
	v_perm_b32 v147, v157, v156, s53                           // 000000012BD0: D1ED0093 00D7399D
	v_perm_b32 v147, v158, v147, s54                           // 000000012BD8: D1ED0093 00DB279E
	v_perm_b32 v147, v159, v147, s55                           // 000000012BE0: D1ED0093 00DF279F
	ds_write_b32 v10, v144 offset:33280                        // 000000012BE8: D81A8200 0000900A
	ds_write_b32 v10, v145 offset:34304                        // 000000012BF0: D81A8600 0000910A
	ds_write_b32 v10, v146 offset:35328                        // 000000012BF8: D81A8A00 0000920A
	ds_write_b32 v10, v147 offset:36352                        // 000000012C00: D81A8E00 0000930A
	v_add_f32_e32 v224, v224, v192                             // 000000012C08: 03C181E0
	v_add_f32_e32 v225, v225, v193                             // 000000012C0C: 03C383E1
	v_add_f32_e32 v226, v226, v194                             // 000000012C10: 03C585E2
	v_add_f32_e32 v227, v227, v195                             // 000000012C14: 03C787E3
	v_add_f32_e32 v228, v228, v196                             // 000000012C18: 03C989E4
	v_add_f32_e32 v229, v229, v197                             // 000000012C1C: 03CB8BE5
	v_add_f32_e32 v230, v230, v198                             // 000000012C20: 03CD8DE6
	v_add_f32_e32 v231, v231, v199                             // 000000012C24: 03CF8FE7
	v_rcp_f32_e32 v46, v48                                     // 000000012C28: 7E5C4530
	s_waitcnt lgkmcnt(0)                                       // 000000012C2C: BF8CC07F
	s_barrier                                                  // 000000012C30: BF8A0000
	ds_read_b64 v[144:145], v9 offset:33280                    // 000000012C34: D8EC8200 90000009
	ds_read_b64 v[146:147], v9 offset:33408                    // 000000012C3C: D8EC8280 92000009
	ds_read_b64 v[148:149], v9 offset:34304                    // 000000012C44: D8EC8600 94000009
	ds_read_b64 v[150:151], v9 offset:34432                    // 000000012C4C: D8EC8680 96000009
	ds_read_b64 v[152:153], v9 offset:35328                    // 000000012C54: D8EC8A00 98000009
	ds_read_b64 v[154:155], v9 offset:35456                    // 000000012C5C: D8EC8A80 9A000009
	ds_read_b64 v[156:157], v9 offset:36352                    // 000000012C64: D8EC8E00 9C000009
	ds_read_b64 v[158:159], v9 offset:36480                    // 000000012C6C: D8EC8E80 9E000009
	s_waitcnt vmcnt(15)                                        // 000000012C74: BF8C0F7F
	v_mfma_i32_16x16x32_i8 v[176:179], a[96:97], v[112:113], 0 // 000000012C78: D3D700B0 0A02E160
	v_mfma_i32_16x16x32_i8 v[176:179], a[98:99], v[114:115], v[176:179]// 000000012C80: D3D700B0 0EC2E562
	buffer_load_dwordx4 a[80:83], v30, s[20:23], 0 offen offset:1024// 000000012C88: E05C1400 8085501E
	v_mfma_i32_16x16x32_i8 v[176:179], a[100:101], v[116:117], v[176:179]// 000000012C90: D3D700B0 0EC2E964
	v_mfma_i32_16x16x32_i8 v[176:179], a[102:103], v[118:119], v[176:179]// 000000012C98: D3D700B0 0EC2ED66
	v_mfma_i32_16x16x32_i8 v[176:179], a[104:105], v[120:121], v[176:179]// 000000012CA0: D3D700B0 0EC2F168
	v_mfma_i32_16x16x32_i8 v[176:179], a[106:107], v[122:123], v[176:179]// 000000012CA8: D3D700B0 0EC2F56A
	buffer_load_dwordx4 a[84:87], v31, s[20:23], 0 offen offset:1024// 000000012CB0: E05C1400 8085541F
	v_mfma_i32_16x16x32_i8 v[176:179], a[108:109], v[124:125], v[176:179]// 000000012CB8: D3D700B0 0EC2F96C
	v_mfma_i32_16x16x32_i8 v[176:179], a[110:111], v[126:127], v[176:179]// 000000012CC0: D3D700B0 0EC2FD6E
	v_mfma_i32_16x16x32_i8 v[180:183], a[112:113], v[112:113], 0// 000000012CC8: D3D700B4 0A02E170
	v_mfma_i32_16x16x32_i8 v[180:183], a[114:115], v[114:115], v[180:183]// 000000012CD0: D3D700B4 0ED2E572
	buffer_load_dwordx4 a[88:91], v32, s[20:23], 0 offen offset:1024// 000000012CD8: E05C1400 80855820
	v_mfma_i32_16x16x32_i8 v[180:183], a[116:117], v[116:117], v[180:183]// 000000012CE0: D3D700B4 0ED2E974
	v_mfma_i32_16x16x32_i8 v[180:183], a[118:119], v[118:119], v[180:183]// 000000012CE8: D3D700B4 0ED2ED76
	v_mfma_i32_16x16x32_i8 v[180:183], a[120:121], v[120:121], v[180:183]// 000000012CF0: D3D700B4 0ED2F178
	v_mfma_i32_16x16x32_i8 v[180:183], a[122:123], v[122:123], v[180:183]// 000000012CF8: D3D700B4 0ED2F57A
	buffer_load_dwordx4 a[92:95], v33, s[20:23], 0 offen offset:1024// 000000012D00: E05C1400 80855C21
	v_mfma_i32_16x16x32_i8 v[180:183], a[124:125], v[124:125], v[180:183]// 000000012D08: D3D700B4 0ED2F97C
	s_lshr_b32 s57, s70, 4                                     // 000000012D10: 8F398446
	s_add_u32 s57, 48, s57                                     // 000000012D14: 803939B0
	v_mfma_i32_16x16x32_i8 v[180:183], a[126:127], v[126:127], v[180:183]// 000000012D18: D3D700B4 0ED2FD7E
	s_cmp_ge_u32 s57, s73                                      // 000000012D20: BF094939
	s_cselect_b32 s56, 0, s56                                  // 000000012D24: 85383880
	v_mfma_i32_16x16x32_i8 v[184:187], a[96:97], v[128:129], 0 // 000000012D28: D3D700B8 0A030160
	v_mfma_i32_16x16x32_i8 v[184:187], a[98:99], v[130:131], v[184:187]// 000000012D30: D3D700B8 0EE30562
	v_mfma_i32_16x16x32_i8 v[184:187], a[100:101], v[132:133], v[184:187]// 000000012D38: D3D700B8 0EE30964
	v_mfma_i32_16x16x32_i8 v[184:187], a[102:103], v[134:135], v[184:187]// 000000012D40: D3D700B8 0EE30D66
	v_mfma_i32_16x16x32_i8 v[184:187], a[104:105], v[136:137], v[184:187]// 000000012D48: D3D700B8 0EE31168
	v_mfma_i32_16x16x32_i8 v[184:187], a[106:107], v[138:139], v[184:187]// 000000012D50: D3D700B8 0EE3156A
	v_mfma_i32_16x16x32_i8 v[184:187], a[108:109], v[140:141], v[184:187]// 000000012D58: D3D700B8 0EE3196C
	v_mfma_i32_16x16x32_i8 v[184:187], a[110:111], v[142:143], v[184:187]// 000000012D60: D3D700B8 0EE31D6E
	v_mfma_i32_16x16x32_i8 v[188:191], a[112:113], v[128:129], 0// 000000012D68: D3D700BC 0A030170
	v_mfma_i32_16x16x32_i8 v[188:191], a[114:115], v[130:131], v[188:191]// 000000012D70: D3D700BC 0EF30572
	v_mfma_i32_16x16x32_i8 v[188:191], a[116:117], v[132:133], v[188:191]// 000000012D78: D3D700BC 0EF30974
	v_mfma_i32_16x16x32_i8 v[188:191], a[118:119], v[134:135], v[188:191]// 000000012D80: D3D700BC 0EF30D76
	v_mfma_i32_16x16x32_i8 v[188:191], a[120:121], v[136:137], v[188:191]// 000000012D88: D3D700BC 0EF31178
	v_mfma_i32_16x16x32_i8 v[188:191], a[122:123], v[138:139], v[188:191]// 000000012D90: D3D700BC 0EF3157A
	v_mfma_i32_16x16x32_i8 v[188:191], a[124:125], v[140:141], v[188:191]// 000000012D98: D3D700BC 0EF3197C
	v_mfma_i32_16x16x32_i8 v[188:191], a[126:127], v[142:143], v[188:191]// 000000012DA0: D3D700BC 0EF31D7E
	v_mfma_i32_16x16x32_i8 v[192:195], a[96:97], v[144:145], 0 // 000000012DA8: D3D700C0 0A032160
	v_mfma_i32_16x16x32_i8 v[192:195], a[98:99], v[146:147], v[192:195]// 000000012DB0: D3D700C0 0F032562
	v_mfma_i32_16x16x32_i8 v[192:195], a[100:101], v[148:149], v[192:195]// 000000012DB8: D3D700C0 0F032964
	v_mfma_i32_16x16x32_i8 v[192:195], a[102:103], v[150:151], v[192:195]// 000000012DC0: D3D700C0 0F032D66
	v_mfma_i32_16x16x32_i8 v[192:195], a[104:105], v[152:153], v[192:195]// 000000012DC8: D3D700C0 0F033168
	v_mfma_i32_16x16x32_i8 v[192:195], a[106:107], v[154:155], v[192:195]// 000000012DD0: D3D700C0 0F03356A
	v_mfma_i32_16x16x32_i8 v[192:195], a[108:109], v[156:157], v[192:195]// 000000012DD8: D3D700C0 0F03396C
	v_mfma_i32_16x16x32_i8 v[192:195], a[110:111], v[158:159], v[192:195]// 000000012DE0: D3D700C0 0F033D6E
	v_mfma_i32_16x16x32_i8 v[196:199], a[112:113], v[144:145], 0// 000000012DE8: D3D700C4 0A032170
	v_mfma_i32_16x16x32_i8 v[196:199], a[114:115], v[146:147], v[196:199]// 000000012DF0: D3D700C4 0F132572
	v_mfma_i32_16x16x32_i8 v[196:199], a[116:117], v[148:149], v[196:199]// 000000012DF8: D3D700C4 0F132974
	v_mfma_i32_16x16x32_i8 v[196:199], a[118:119], v[150:151], v[196:199]// 000000012E00: D3D700C4 0F132D76
	v_mfma_i32_16x16x32_i8 v[196:199], a[120:121], v[152:153], v[196:199]// 000000012E08: D3D700C4 0F133178
	v_mfma_i32_16x16x32_i8 v[196:199], a[122:123], v[154:155], v[196:199]// 000000012E10: D3D700C4 0F13357A
	v_mfma_i32_16x16x32_i8 v[196:199], a[124:125], v[156:157], v[196:199]// 000000012E18: D3D700C4 0F13397C
	v_mfma_i32_16x16x32_i8 v[196:199], a[126:127], v[158:159], v[196:199]// 000000012E20: D3D700C4 0F133D7E
	v_add_u32_e32 v1, s56, v1                                  // 000000012E28: 68020238
	s_addk_i32 s70, 0x100                                      // 000000012E2C: B7460100
	s_cmp_lt_i32 s70, s71                                      // 000000012E30: BF044746
	s_cbranch_scc0 label_430F                                  // 000000012E34: BF840001
	s_branch label_3582                                        // 000000012E38: BF82F273

0000000000012e3c <label_430F>:
	s_nop 0                                                    // 000000012E3C: BF800000
	s_nop 0                                                    // 000000012E40: BF800000
	s_branch label_509F                                        // 000000012E44: BF820D8D

0000000000012e48 <label_4312>:
	s_waitcnt vmcnt(8) lgkmcnt(0)                              // 000000012E48: BF8C0078
	v_mul_u32_u24_dpp v64, v17, v54 row_newbcast:0 row_mask:0xf bank_mask:0xf// 000000012E4C: 10806CFA FF015011
	v_mul_u32_u24_dpp v65, v17, v54 row_newbcast:4 row_mask:0xf bank_mask:0xf// 000000012E54: 10826CFA FF015411
	v_mul_u32_u24_dpp v66, v17, v54 row_newbcast:8 row_mask:0xf bank_mask:0xf// 000000012E5C: 10846CFA FF015811
	v_mul_u32_u24_dpp v67, v17, v54 row_newbcast:12 row_mask:0xf bank_mask:0xf// 000000012E64: 10866CFA FF015C11
	v_add_u32_e32 v26, v64, v5                                 // 000000012E6C: 68340B40
	v_add_u32_e32 v27, v65, v5                                 // 000000012E70: 68360B41
	v_add_u32_e32 v28, v66, v5                                 // 000000012E74: 68380B42
	v_add_u32_e32 v29, v67, v5                                 // 000000012E78: 683A0B43
	v_mul_u32_u24_dpp v64, v17, v63 quad_perm:[0,0,0,0] row_mask:0xf bank_mask:0xf// 000000012E7C: 10807EFA FF000011
	v_add_u32_e32 v3, v64, v59                                 // 000000012E84: 68067740
	v_mul_u32_u24_dpp v64, v17, v63 quad_perm:[0,0,0,0] row_mask:0xf bank_mask:0xf// 000000012E88: 10807EFA FF000011
	v_add_u32_e32 v56, v64, v60                                // 000000012E90: 68707940
	v_mfma_i32_16x16x32_i8 v[112:115], a[0:1], v[80:81], 0     // 000000012E94: D3D70070 0A02A100
	buffer_load_dwordx4 a[32:35], v26, s[16:19], 0 offen       // 000000012E9C: E05C1000 8084201A
	v_mfma_i32_16x16x32_i8 v[112:115], a[2:3], v[82:83], v[112:115]// 000000012EA4: D3D70070 0DC2A502
	v_mfma_i32_16x16x32_i8 v[112:115], a[4:5], v[84:85], v[112:115]// 000000012EAC: D3D70070 0DC2A904
	buffer_load_dword v16, v1, s[24:27], 0 offen               // 000000012EB4: E0501000 80061001
	v_mfma_i32_16x16x32_i8 v[112:115], a[6:7], v[86:87], v[112:115]// 000000012EBC: D3D70070 0DC2AD06
	v_mfma_i32_16x16x32_i8 v[116:119], a[8:9], v[80:81], 0     // 000000012EC4: D3D70074 0A02A108
	buffer_load_dwordx4 a[36:39], v26, s[16:19], 0 offen offset:1024// 000000012ECC: E05C1400 8084241A
	v_mfma_i32_16x16x32_i8 v[116:119], a[10:11], v[82:83], v[116:119]// 000000012ED4: D3D70074 0DD2A50A
	v_mfma_i32_16x16x32_i8 v[116:119], a[12:13], v[84:85], v[116:119]// 000000012EDC: D3D70074 0DD2A90C
	v_mfma_i32_16x16x32_i8 v[116:119], a[14:15], v[86:87], v[116:119]// 000000012EE4: D3D70074 0DD2AD0E
	v_mfma_i32_16x16x32_i8 v[120:123], a[16:17], v[80:81], 0   // 000000012EEC: D3D70078 0A02A110
	buffer_load_dwordx4 a[40:43], v27, s[16:19], 0 offen       // 000000012EF4: E05C1000 8084281B
	v_mfma_i32_16x16x32_i8 v[120:123], a[18:19], v[82:83], v[120:123]// 000000012EFC: D3D70078 0DE2A512
	v_mfma_i32_16x16x32_i8 v[120:123], a[20:21], v[84:85], v[120:123]// 000000012F04: D3D70078 0DE2A914
	v_mfma_i32_16x16x32_i8 v[120:123], a[22:23], v[86:87], v[120:123]// 000000012F0C: D3D70078 0DE2AD16
	v_mfma_i32_16x16x32_i8 v[124:127], a[24:25], v[80:81], 0   // 000000012F14: D3D7007C 0A02A118
	buffer_load_dwordx4 a[44:47], v27, s[16:19], 0 offen offset:1024// 000000012F1C: E05C1400 80842C1B
	v_mfma_i32_16x16x32_i8 v[124:127], a[26:27], v[82:83], v[124:127]// 000000012F24: D3D7007C 0DF2A51A
	v_mfma_i32_16x16x32_i8 v[124:127], a[28:29], v[84:85], v[124:127]// 000000012F2C: D3D7007C 0DF2A91C
	v_mfma_i32_16x16x32_i8 v[124:127], a[30:31], v[86:87], v[124:127]// 000000012F34: D3D7007C 0DF2AD1E
	v_mfma_i32_16x16x32_i8 v[128:131], a[0:1], v[88:89], 0     // 000000012F3C: D3D70080 0A02B100
	v_mfma_i32_16x16x32_i8 v[128:131], a[2:3], v[90:91], v[128:131]// 000000012F44: D3D70080 0E02B502
	v_mfma_i32_16x16x32_i8 v[128:131], a[4:5], v[92:93], v[128:131]// 000000012F4C: D3D70080 0E02B904
	v_mfma_i32_16x16x32_i8 v[128:131], a[6:7], v[94:95], v[128:131]// 000000012F54: D3D70080 0E02BD06
	v_mfma_i32_16x16x32_i8 v[132:135], a[8:9], v[88:89], 0     // 000000012F5C: D3D70084 0A02B108
	v_mfma_i32_16x16x32_i8 v[132:135], a[10:11], v[90:91], v[132:135]// 000000012F64: D3D70084 0E12B50A
	v_mfma_i32_16x16x32_i8 v[132:135], a[12:13], v[92:93], v[132:135]// 000000012F6C: D3D70084 0E12B90C
	v_mfma_i32_16x16x32_i8 v[132:135], a[14:15], v[94:95], v[132:135]// 000000012F74: D3D70084 0E12BD0E
	v_mfma_i32_16x16x32_i8 v[136:139], a[16:17], v[88:89], 0   // 000000012F7C: D3D70088 0A02B110
	v_mfma_i32_16x16x32_i8 v[136:139], a[18:19], v[90:91], v[136:139]// 000000012F84: D3D70088 0E22B512
	v_mfma_i32_16x16x32_i8 v[136:139], a[20:21], v[92:93], v[136:139]// 000000012F8C: D3D70088 0E22B914
	v_mfma_i32_16x16x32_i8 v[136:139], a[22:23], v[94:95], v[136:139]// 000000012F94: D3D70088 0E22BD16
	v_mfma_i32_16x16x32_i8 v[140:143], a[24:25], v[88:89], 0   // 000000012F9C: D3D7008C 0A02B118
	v_mfma_i32_16x16x32_i8 v[140:143], a[26:27], v[90:91], v[140:143]// 000000012FA4: D3D7008C 0E32B51A
	v_mfma_i32_16x16x32_i8 v[140:143], a[28:29], v[92:93], v[140:143]// 000000012FAC: D3D7008C 0E32B91C
	v_mfma_i32_16x16x32_i8 v[140:143], a[30:31], v[94:95], v[140:143]// 000000012FB4: D3D7008C 0E32BD1E
	v_mfma_i32_16x16x32_i8 v[144:147], a[0:1], v[96:97], 0     // 000000012FBC: D3D70090 0A02C100
	v_mfma_i32_16x16x32_i8 v[144:147], a[2:3], v[98:99], v[144:147]// 000000012FC4: D3D70090 0E42C502
	v_mfma_i32_16x16x32_i8 v[144:147], a[4:5], v[100:101], v[144:147]// 000000012FCC: D3D70090 0E42C904
	v_mfma_i32_16x16x32_i8 v[144:147], a[6:7], v[102:103], v[144:147]// 000000012FD4: D3D70090 0E42CD06
	v_mfma_i32_16x16x32_i8 v[148:151], a[8:9], v[96:97], 0     // 000000012FDC: D3D70094 0A02C108
	v_mfma_i32_16x16x32_i8 v[148:151], a[10:11], v[98:99], v[148:151]// 000000012FE4: D3D70094 0E52C50A
	v_mfma_i32_16x16x32_i8 v[148:151], a[12:13], v[100:101], v[148:151]// 000000012FEC: D3D70094 0E52C90C
	v_mfma_i32_16x16x32_i8 v[148:151], a[14:15], v[102:103], v[148:151]// 000000012FF4: D3D70094 0E52CD0E
	v_mfma_i32_16x16x32_i8 v[152:155], a[16:17], v[96:97], 0   // 000000012FFC: D3D70098 0A02C110
	v_mfma_i32_16x16x32_i8 v[152:155], a[18:19], v[98:99], v[152:155]// 000000013004: D3D70098 0E62C512
	v_mfma_i32_16x16x32_i8 v[152:155], a[20:21], v[100:101], v[152:155]// 00000001300C: D3D70098 0E62C914
	v_mfma_i32_16x16x32_i8 v[152:155], a[22:23], v[102:103], v[152:155]// 000000013014: D3D70098 0E62CD16
	v_mfma_i32_16x16x32_i8 v[156:159], a[24:25], v[96:97], 0   // 00000001301C: D3D7009C 0A02C118
	v_mfma_i32_16x16x32_i8 v[156:159], a[26:27], v[98:99], v[156:159]// 000000013024: D3D7009C 0E72C51A
	v_mfma_i32_16x16x32_i8 v[156:159], a[28:29], v[100:101], v[156:159]// 00000001302C: D3D7009C 0E72C91C
	v_mfma_i32_16x16x32_i8 v[156:159], a[30:31], v[102:103], v[156:159]// 000000013034: D3D7009C 0E72CD1E
	buffer_load_dword v43, v3, s[32:35], 0 offen               // 00000001303C: E0501000 80082B03
	v_mov_b32_dpp v64, v42 row_shr:4 row_mask:0xf bank_mask:0xf// 000000013044: 7E8002FA FF01142A
	v_mov_b32_dpp v65, v42 row_shl:4 row_mask:0xf bank_mask:0xf// 00000001304C: 7E8202FA FF01042A
	v_cndmask_b32_e64 v248, v42, v64, s[44:45]                 // 000000013054: D10000F8 00B2812A
	v_cndmask_b32_e64 v249, v65, v42, s[44:45]                 // 00000001305C: D10000F9 00B25541
	v_mov_b32_dpp v64, v248 row_shr:8 row_mask:0xf bank_mask:0xf// 000000013064: 7E8002FA FF0118F8
	v_mov_b32_dpp v65, v248 row_shl:8 row_mask:0xf bank_mask:0xf// 00000001306C: 7E8202FA FF0108F8
	v_mov_b32_dpp v66, v249 row_shr:8 row_mask:0xf bank_mask:0xf// 000000013074: 7E8402FA FF0118F9
	v_mov_b32_dpp v67, v249 row_shl:8 row_mask:0xf bank_mask:0xf// 00000001307C: 7E8602FA FF0108F9
	v_mov_b32_e32 v68, v248                                    // 000000013084: 7E8803F8
	v_mov_b32_e32 v69, v249                                    // 000000013088: 7E8A03F9
	v_cndmask_b32_e64 v248, v68, v64, s[42:43]                 // 00000001308C: D10000F8 00AA8144
	v_cndmask_b32_e64 v250, v68, v65, s[78:79]                 // 000000013094: D10000FA 013A8344
	v_cndmask_b32_e64 v249, v69, v66, s[42:43]                 // 00000001309C: D10000F9 00AA8545
	v_cndmask_b32_e64 v251, v69, v67, s[78:79]                 // 0000000130A4: D10000FB 013A8745
	v_mov_b32_dpp v64, v57 row_shr:4 row_mask:0xf bank_mask:0xf// 0000000130AC: 7E8002FA FF011439
	v_mov_b32_dpp v65, v57 row_shl:4 row_mask:0xf bank_mask:0xf// 0000000130B4: 7E8202FA FF010439
	v_cndmask_b32_e64 v252, v57, v64, s[44:45]                 // 0000000130BC: D10000FC 00B28139
	v_cndmask_b32_e64 v253, v65, v57, s[44:45]                 // 0000000130C4: D10000FD 00B27341
	v_mov_b32_dpp v64, v252 row_shr:8 row_mask:0xf bank_mask:0xf// 0000000130CC: 7E8002FA FF0118FC
	v_mov_b32_dpp v65, v252 row_shl:8 row_mask:0xf bank_mask:0xf// 0000000130D4: 7E8202FA FF0108FC
	v_mov_b32_dpp v66, v253 row_shr:8 row_mask:0xf bank_mask:0xf// 0000000130DC: 7E8402FA FF0118FD
	v_mov_b32_dpp v67, v253 row_shl:8 row_mask:0xf bank_mask:0xf// 0000000130E4: 7E8602FA FF0108FD
	v_mov_b32_e32 v68, v252                                    // 0000000130EC: 7E8803FC
	v_mov_b32_e32 v69, v253                                    // 0000000130F0: 7E8A03FD
	v_cndmask_b32_e64 v252, v68, v64, s[42:43]                 // 0000000130F4: D10000FC 00AA8144
	v_cndmask_b32_e64 v254, v68, v65, s[78:79]                 // 0000000130FC: D10000FE 013A8344
	v_cndmask_b32_e64 v253, v69, v66, s[42:43]                 // 000000013104: D10000FD 00AA8545
	v_cndmask_b32_e64 v255, v69, v67, s[78:79]                 // 00000001310C: D10000FF 013A8745
	buffer_load_dword v58, v56, s[36:39], 0 offen              // 000000013114: E0501000 80093A38
	v_cvt_f32_i32_e32 v112, v112                               // 00000001311C: 7EE00B70
	v_cvt_f32_i32_e32 v113, v113                               // 000000013120: 7EE20B71
	v_cvt_f32_i32_e32 v114, v114                               // 000000013124: 7EE40B72
	v_cvt_f32_i32_e32 v115, v115                               // 000000013128: 7EE60B73
	v_cvt_f32_i32_e32 v116, v116                               // 00000001312C: 7EE80B74
	v_cvt_f32_i32_e32 v117, v117                               // 000000013130: 7EEA0B75
	v_cvt_f32_i32_e32 v118, v118                               // 000000013134: 7EEC0B76
	v_cvt_f32_i32_e32 v119, v119                               // 000000013138: 7EEE0B77
	v_cvt_f32_i32_e32 v120, v120                               // 00000001313C: 7EF00B78
	v_cvt_f32_i32_e32 v121, v121                               // 000000013140: 7EF20B79
	v_cvt_f32_i32_e32 v122, v122                               // 000000013144: 7EF40B7A
	v_cvt_f32_i32_e32 v123, v123                               // 000000013148: 7EF60B7B
	v_cvt_f32_i32_e32 v124, v124                               // 00000001314C: 7EF80B7C
	v_cvt_f32_i32_e32 v125, v125                               // 000000013150: 7EFA0B7D
	v_cvt_f32_i32_e32 v126, v126                               // 000000013154: 7EFC0B7E
	v_cvt_f32_i32_e32 v127, v127                               // 000000013158: 7EFE0B7F
	v_mul_f32_e32 v112, v18, v112                              // 00000001315C: 0AE0E112
	v_mul_f32_e32 v113, v18, v113                              // 000000013160: 0AE2E312
	v_mul_f32_e32 v114, v18, v114                              // 000000013164: 0AE4E512
	v_mul_f32_e32 v115, v18, v115                              // 000000013168: 0AE6E712
	v_mul_f32_e32 v116, v18, v116                              // 00000001316C: 0AE8E912
	v_mul_f32_e32 v117, v18, v117                              // 000000013170: 0AEAEB12
	v_mul_f32_e32 v118, v18, v118                              // 000000013174: 0AECED12
	v_mul_f32_e32 v119, v18, v119                              // 000000013178: 0AEEEF12
	v_mul_f32_e32 v120, v18, v120                              // 00000001317C: 0AF0F112
	v_mul_f32_e32 v121, v18, v121                              // 000000013180: 0AF2F312
	v_mul_f32_e32 v122, v18, v122                              // 000000013184: 0AF4F512
	v_mul_f32_e32 v123, v18, v123                              // 000000013188: 0AF6F712
	v_mul_f32_e32 v124, v18, v124                              // 00000001318C: 0AF8F912
	v_mul_f32_e32 v125, v18, v125                              // 000000013190: 0AFAFB12
	v_mul_f32_e32 v126, v18, v126                              // 000000013194: 0AFCFD12
	v_mul_f32_e32 v127, v18, v127                              // 000000013198: 0AFEFF12
	buffer_load_dwordx4 a[48:51], v28, s[16:19], 0 offen       // 00000001319C: E05C1000 8084301C
	v_mul_f32_dpp v112, v248, v112 quad_perm:[0,0,0,0] row_mask:0xf bank_mask:0xf// 0000000131A4: 0AE0E0FA FF0000F8
	v_mul_f32_dpp v113, v248, v113 quad_perm:[1,1,1,1] row_mask:0xf bank_mask:0xf// 0000000131AC: 0AE2E2FA FF0055F8
	v_mul_f32_dpp v114, v248, v114 quad_perm:[2,2,2,2] row_mask:0xf bank_mask:0xf// 0000000131B4: 0AE4E4FA FF00AAF8
	v_mul_f32_dpp v115, v248, v115 quad_perm:[3,3,3,3] row_mask:0xf bank_mask:0xf// 0000000131BC: 0AE6E6FA FF00FFF8
	v_mul_f32_dpp v116, v249, v116 quad_perm:[0,0,0,0] row_mask:0xf bank_mask:0xf// 0000000131C4: 0AE8E8FA FF0000F9
	v_mul_f32_dpp v117, v249, v117 quad_perm:[1,1,1,1] row_mask:0xf bank_mask:0xf// 0000000131CC: 0AEAEAFA FF0055F9
	v_mul_f32_dpp v118, v249, v118 quad_perm:[2,2,2,2] row_mask:0xf bank_mask:0xf// 0000000131D4: 0AECECFA FF00AAF9
	v_mul_f32_dpp v119, v249, v119 quad_perm:[3,3,3,3] row_mask:0xf bank_mask:0xf// 0000000131DC: 0AEEEEFA FF00FFF9
	v_mul_f32_dpp v120, v250, v120 quad_perm:[0,0,0,0] row_mask:0xf bank_mask:0xf// 0000000131E4: 0AF0F0FA FF0000FA
	v_mul_f32_dpp v121, v250, v121 quad_perm:[1,1,1,1] row_mask:0xf bank_mask:0xf// 0000000131EC: 0AF2F2FA FF0055FA
	v_mul_f32_dpp v122, v250, v122 quad_perm:[2,2,2,2] row_mask:0xf bank_mask:0xf// 0000000131F4: 0AF4F4FA FF00AAFA
	v_mul_f32_dpp v123, v250, v123 quad_perm:[3,3,3,3] row_mask:0xf bank_mask:0xf// 0000000131FC: 0AF6F6FA FF00FFFA
	v_mul_f32_dpp v124, v251, v124 quad_perm:[0,0,0,0] row_mask:0xf bank_mask:0xf// 000000013204: 0AF8F8FA FF0000FB
	v_mul_f32_dpp v125, v251, v125 quad_perm:[1,1,1,1] row_mask:0xf bank_mask:0xf// 00000001320C: 0AFAFAFA FF0055FB
	v_mul_f32_dpp v126, v251, v126 quad_perm:[2,2,2,2] row_mask:0xf bank_mask:0xf// 000000013214: 0AFCFCFA FF00AAFB
	v_mul_f32_dpp v127, v251, v127 quad_perm:[3,3,3,3] row_mask:0xf bank_mask:0xf// 00000001321C: 0AFEFEFA FF00FFFB
	buffer_load_dwordx4 a[52:55], v28, s[16:19], 0 offen offset:1024// 000000013224: E05C1400 8084341C
	v_mov_b32_e32 v48, v112                                    // 00000001322C: 7E600370
	v_max3_f32 v48, v112, v113, v48                            // 000000013230: D1D30030 04C2E370
	v_max3_f32 v48, v114, v115, v48                            // 000000013238: D1D30030 04C2E772
	v_max3_f32 v48, v116, v117, v48                            // 000000013240: D1D30030 04C2EB74
	v_max3_f32 v48, v118, v119, v48                            // 000000013248: D1D30030 04C2EF76
	v_max3_f32 v48, v120, v121, v48                            // 000000013250: D1D30030 04C2F378
	v_max3_f32 v48, v122, v123, v48                            // 000000013258: D1D30030 04C2F77A
	v_max3_f32 v48, v124, v125, v48                            // 000000013260: D1D30030 04C2FB7C
	v_max3_f32 v48, v126, v127, v48                            // 000000013268: D1D30030 04C2FF7E
	ds_write_b32 v8, v48 offset:16896                          // 000000013270: D81A4200 00003008
	buffer_load_dwordx4 a[56:59], v29, s[16:19], 0 offen       // 000000013278: E05C1000 8084381D
	v_mul_u32_u24_dpp v64, v17, v54 row_newbcast:1 row_mask:0xf bank_mask:0xf// 000000013280: 10806CFA FF015111
	v_mul_u32_u24_dpp v65, v17, v54 row_newbcast:5 row_mask:0xf bank_mask:0xf// 000000013288: 10826CFA FF015511
	v_mul_u32_u24_dpp v66, v17, v54 row_newbcast:9 row_mask:0xf bank_mask:0xf// 000000013290: 10846CFA FF015911
	v_mul_u32_u24_dpp v67, v17, v54 row_newbcast:13 row_mask:0xf bank_mask:0xf// 000000013298: 10866CFA FF015D11
	v_add_u32_e32 v34, v64, v6                                 // 0000000132A0: 68440D40
	v_add_u32_e32 v35, v65, v6                                 // 0000000132A4: 68460D41
	v_add_u32_e32 v36, v66, v6                                 // 0000000132A8: 68480D42
	v_add_u32_e32 v37, v67, v6                                 // 0000000132AC: 684A0D43
	v_mul_f32_e32 v208, v49, v208                              // 0000000132B0: 0BA1A131
	v_mul_f32_e32 v209, v49, v209                              // 0000000132B4: 0BA3A331
	v_mul_f32_e32 v210, v49, v210                              // 0000000132B8: 0BA5A531
	v_mul_f32_e32 v211, v49, v211                              // 0000000132BC: 0BA7A731
	v_mul_f32_e32 v212, v49, v212                              // 0000000132C0: 0BA9A931
	v_mul_f32_e32 v213, v49, v213                              // 0000000132C4: 0BABAB31
	v_mul_f32_e32 v214, v49, v214                              // 0000000132C8: 0BADAD31
	v_mul_f32_e32 v215, v49, v215                              // 0000000132CC: 0BAFAF31
	s_waitcnt lgkmcnt(0)                                       // 0000000132D0: BF8CC07F
	s_barrier                                                  // 0000000132D4: BF8A0000
	ds_read_b32 v64, v7 offset:16896                           // 0000000132D8: D86C4200 40000007
	ds_read_b32 v65, v7 offset:16960                           // 0000000132E0: D86C4240 41000007
	ds_read_b32 v66, v7 offset:17024                           // 0000000132E8: D86C4280 42000007
	ds_read_b32 v67, v7 offset:17088                           // 0000000132F0: D86C42C0 43000007
	ds_read_b32 v68, v7 offset:17152                           // 0000000132F8: D86C4300 44000007
	ds_read_b32 v69, v7 offset:17216                           // 000000013300: D86C4340 45000007
	ds_read_b32 v70, v7 offset:17280                           // 000000013308: D86C4380 46000007
	ds_read_b32 v71, v7 offset:17344                           // 000000013310: D86C43C0 47000007
	ds_read_b32 v72, v7 offset:17408                           // 000000013318: D86C4400 48000007
	ds_read_b32 v73, v7 offset:17472                           // 000000013320: D86C4440 49000007
	ds_read_b32 v74, v7 offset:17536                           // 000000013328: D86C4480 4A000007
	ds_read_b32 v75, v7 offset:17600                           // 000000013330: D86C44C0 4B000007
	ds_read_b32 v76, v7 offset:17664                           // 000000013338: D86C4500 4C000007
	ds_read_b32 v77, v7 offset:17728                           // 000000013340: D86C4540 4D000007
	ds_read_b32 v78, v7 offset:17792                           // 000000013348: D86C4580 4E000007
	ds_read_b32 v79, v7 offset:17856                           // 000000013350: D86C45C0 4F000007
	buffer_load_dwordx4 a[60:63], v29, s[16:19], 0 offen offset:1024// 000000013358: E05C1400 80843C1D
	v_cvt_f32_i32_e32 v176, v176                               // 000000013360: 7F600BB0
	v_cvt_f32_i32_e32 v177, v177                               // 000000013364: 7F620BB1
	v_cvt_f32_i32_e32 v178, v178                               // 000000013368: 7F640BB2
	v_cvt_f32_i32_e32 v179, v179                               // 00000001336C: 7F660BB3
	v_cvt_f32_i32_e32 v180, v180                               // 000000013370: 7F680BB4
	v_cvt_f32_i32_e32 v181, v181                               // 000000013374: 7F6A0BB5
	v_cvt_f32_i32_e32 v182, v182                               // 000000013378: 7F6C0BB6
	v_cvt_f32_i32_e32 v183, v183                               // 00000001337C: 7F6E0BB7
	v_mul_f32_e32 v176, v44, v176                              // 000000013380: 0B61612C
	v_mul_f32_e32 v177, v44, v177                              // 000000013384: 0B63632C
	v_mul_f32_e32 v178, v44, v178                              // 000000013388: 0B65652C
	v_mul_f32_e32 v179, v44, v179                              // 00000001338C: 0B67672C
	v_mul_f32_e32 v180, v44, v180                              // 000000013390: 0B69692C
	v_mul_f32_e32 v181, v44, v181                              // 000000013394: 0B6B6B2C
	v_mul_f32_e32 v182, v44, v182                              // 000000013398: 0B6D6D2C
	v_mul_f32_e32 v183, v44, v183                              // 00000001339C: 0B6F6F2C
	s_waitcnt lgkmcnt(0)                                       // 0000000133A0: BF8CC07F
	v_max3_f32 v48, v64, v65, v48                              // 0000000133A4: D1D30030 04C28340
	v_max3_f32 v48, v66, v67, v48                              // 0000000133AC: D1D30030 04C28742
	v_max3_f32 v48, v68, v69, v48                              // 0000000133B4: D1D30030 04C28B44
	v_max3_f32 v48, v70, v71, v48                              // 0000000133BC: D1D30030 04C28F46
	v_max3_f32 v48, v72, v73, v48                              // 0000000133C4: D1D30030 04C29348
	v_max3_f32 v48, v74, v75, v48                              // 0000000133CC: D1D30030 04C2974A
	v_max3_f32 v48, v76, v77, v48                              // 0000000133D4: D1D30030 04C29B4C
	v_max3_f32 v48, v78, v79, v48                              // 0000000133DC: D1D30030 04C29F4E
	buffer_load_dwordx4 a[96:99], v34, s[20:23], 0 offen       // 0000000133E4: E05C1000 80856022
	v_mov_b32_e32 v64, 0xff800000                              // 0000000133EC: 7E8002FF FF800000
	v_cmp_eq_u32_e64 s[40:41], v64, v11                        // 0000000133F4: D0CA0028 00021740
	s_nop 1                                                    // 0000000133FC: BF800001
	v_max_f32_e32 v15, v48, v11                                // 000000013400: 161E1730
	v_mul_f32_e32 v53, s64, v15                                // 000000013404: 0A6A1E40
	v_fma_f32 v112, v112, s64, -v53                            // 000000013408: D1CB0070 84D48170
	v_fma_f32 v113, v113, s64, -v53                            // 000000013410: D1CB0071 84D48171
	v_fma_f32 v114, v114, s64, -v53                            // 000000013418: D1CB0072 84D48172
	v_fma_f32 v115, v115, s64, -v53                            // 000000013420: D1CB0073 84D48173
	v_fma_f32 v116, v116, s64, -v53                            // 000000013428: D1CB0074 84D48174
	v_fma_f32 v117, v117, s64, -v53                            // 000000013430: D1CB0075 84D48175
	v_fma_f32 v118, v118, s64, -v53                            // 000000013438: D1CB0076 84D48176
	v_fma_f32 v119, v119, s64, -v53                            // 000000013440: D1CB0077 84D48177
	v_fma_f32 v120, v120, s64, -v53                            // 000000013448: D1CB0078 84D48178
	v_fma_f32 v121, v121, s64, -v53                            // 000000013450: D1CB0079 84D48179
	v_fma_f32 v122, v122, s64, -v53                            // 000000013458: D1CB007A 84D4817A
	v_fma_f32 v123, v123, s64, -v53                            // 000000013460: D1CB007B 84D4817B
	v_fma_f32 v124, v124, s64, -v53                            // 000000013468: D1CB007C 84D4817C
	v_fma_f32 v125, v125, s64, -v53                            // 000000013470: D1CB007D 84D4817D
	v_fma_f32 v126, v126, s64, -v53                            // 000000013478: D1CB007E 84D4817E
	v_fma_f32 v127, v127, s64, -v53                            // 000000013480: D1CB007F 84D4817F
	buffer_load_dwordx4 a[100:103], v35, s[20:23], 0 offen     // 000000013488: E05C1000 80856423
	v_exp_f32_e32 v112, v112                                   // 000000013490: 7EE04170
	v_exp_f32_e32 v113, v113                                   // 000000013494: 7EE24171
	v_exp_f32_e32 v114, v114                                   // 000000013498: 7EE44172
	v_exp_f32_e32 v115, v115                                   // 00000001349C: 7EE64173
	v_exp_f32_e32 v116, v116                                   // 0000000134A0: 7EE84174
	v_exp_f32_e32 v117, v117                                   // 0000000134A4: 7EEA4175
	v_exp_f32_e32 v118, v118                                   // 0000000134A8: 7EEC4176
	v_exp_f32_e32 v119, v119                                   // 0000000134AC: 7EEE4177
	v_exp_f32_e32 v120, v120                                   // 0000000134B0: 7EF04178
	v_exp_f32_e32 v121, v121                                   // 0000000134B4: 7EF24179
	v_exp_f32_e32 v122, v122                                   // 0000000134B8: 7EF4417A
	v_exp_f32_e32 v123, v123                                   // 0000000134BC: 7EF6417B
	v_exp_f32_e32 v124, v124                                   // 0000000134C0: 7EF8417C
	v_exp_f32_e32 v125, v125                                   // 0000000134C4: 7EFA417D
	v_exp_f32_e32 v126, v126                                   // 0000000134C8: 7EFC417E
	v_exp_f32_e32 v127, v127                                   // 0000000134CC: 7EFE417F
	buffer_load_dwordx4 a[104:107], v36, s[20:23], 0 offen     // 0000000134D0: E05C1000 80856824
	v_mul_f32_dpp v240, v252, v112 quad_perm:[0,0,0,0] row_mask:0xf bank_mask:0xf// 0000000134D8: 0BE0E0FA FF0000FC
	v_mul_f32_dpp v241, v252, v113 quad_perm:[1,1,1,1] row_mask:0xf bank_mask:0xf// 0000000134E0: 0BE2E2FA FF0055FC
	v_mul_f32_dpp v242, v252, v114 quad_perm:[2,2,2,2] row_mask:0xf bank_mask:0xf// 0000000134E8: 0BE4E4FA FF00AAFC
	v_mul_f32_dpp v243, v252, v115 quad_perm:[3,3,3,3] row_mask:0xf bank_mask:0xf// 0000000134F0: 0BE6E6FA FF00FFFC
	v_mul_f32_dpp v244, v253, v116 quad_perm:[0,0,0,0] row_mask:0xf bank_mask:0xf// 0000000134F8: 0BE8E8FA FF0000FD
	v_mul_f32_dpp v245, v253, v117 quad_perm:[1,1,1,1] row_mask:0xf bank_mask:0xf// 000000013500: 0BEAEAFA FF0055FD
	v_mul_f32_dpp v246, v253, v118 quad_perm:[2,2,2,2] row_mask:0xf bank_mask:0xf// 000000013508: 0BECECFA FF00AAFD
	v_mul_f32_dpp v247, v253, v119 quad_perm:[3,3,3,3] row_mask:0xf bank_mask:0xf// 000000013510: 0BEEEEFA FF00FFFD
	v_mul_f32_dpp v248, v254, v120 quad_perm:[0,0,0,0] row_mask:0xf bank_mask:0xf// 000000013518: 0BF0F0FA FF0000FE
	v_mul_f32_dpp v249, v254, v121 quad_perm:[1,1,1,1] row_mask:0xf bank_mask:0xf// 000000013520: 0BF2F2FA FF0055FE
	v_mul_f32_dpp v250, v254, v122 quad_perm:[2,2,2,2] row_mask:0xf bank_mask:0xf// 000000013528: 0BF4F4FA FF00AAFE
	v_mul_f32_dpp v251, v254, v123 quad_perm:[3,3,3,3] row_mask:0xf bank_mask:0xf// 000000013530: 0BF6F6FA FF00FFFE
	v_mul_f32_dpp v252, v255, v124 quad_perm:[0,0,0,0] row_mask:0xf bank_mask:0xf// 000000013538: 0BF8F8FA FF0000FF
	v_mul_f32_dpp v253, v255, v125 quad_perm:[1,1,1,1] row_mask:0xf bank_mask:0xf// 000000013540: 0BFAFAFA FF0055FF
	v_mul_f32_dpp v254, v255, v126 quad_perm:[2,2,2,2] row_mask:0xf bank_mask:0xf// 000000013548: 0BFCFCFA FF00AAFF
	v_mul_f32_dpp v255, v255, v127 quad_perm:[3,3,3,3] row_mask:0xf bank_mask:0xf// 000000013550: 0BFEFEFA FF00FFFF
	v_mov_b32_e32 v48, 0x358637bd                              // 000000013558: 7E6002FF 358637BD
	v_max3_f32 v48, |v240|, |v241|, v48                        // 000000013560: D1D30330 04C3E3F0
	v_max3_f32 v48, |v242|, |v243|, v48                        // 000000013568: D1D30330 04C3E7F2
	v_max3_f32 v48, |v244|, |v245|, v48                        // 000000013570: D1D30330 04C3EBF4
	v_max3_f32 v48, |v246|, |v247|, v48                        // 000000013578: D1D30330 04C3EFF6
	v_max3_f32 v48, |v248|, |v249|, v48                        // 000000013580: D1D30330 04C3F3F8
	v_max3_f32 v48, |v250|, |v251|, v48                        // 000000013588: D1D30330 04C3F7FA
	v_max3_f32 v48, |v252|, |v253|, v48                        // 000000013590: D1D30330 04C3FBFC
	v_max3_f32 v48, |v254|, |v255|, v48                        // 000000013598: D1D30330 04C3FFFE
	buffer_load_dwordx4 a[108:111], v37, s[20:23], 0 offen     // 0000000135A0: E05C1000 80856C25
	ds_write_b32 v8, v48 offset:20992                          // 0000000135A8: D81A5200 00003008
	v_sub_f32_e32 v49, v11, v15                                // 0000000135B0: 04621F0B
	v_cndmask_b32_e64 v49, v49, 0, s[40:41]                    // 0000000135B4: D1000031 00A10131
	v_mov_b32_e32 v11, v15                                     // 0000000135BC: 7E16030F
	v_mul_f32_e32 v49, s64, v49                                // 0000000135C0: 0A626240
	v_exp_f32_e32 v49, v49                                     // 0000000135C4: 7E624131
	s_waitcnt lgkmcnt(0)                                       // 0000000135C8: BF8CC07F
	s_barrier                                                  // 0000000135CC: BF8A0000
	ds_read_b32 v64, v7 offset:20992                           // 0000000135D0: D86C5200 40000007
	ds_read_b32 v65, v7 offset:21056                           // 0000000135D8: D86C5240 41000007
	ds_read_b32 v66, v7 offset:21120                           // 0000000135E0: D86C5280 42000007
	ds_read_b32 v67, v7 offset:21184                           // 0000000135E8: D86C52C0 43000007
	ds_read_b32 v68, v7 offset:21248                           // 0000000135F0: D86C5300 44000007
	ds_read_b32 v69, v7 offset:21312                           // 0000000135F8: D86C5340 45000007
	ds_read_b32 v70, v7 offset:21376                           // 000000013600: D86C5380 46000007
	ds_read_b32 v71, v7 offset:21440                           // 000000013608: D86C53C0 47000007
	ds_read_b32 v72, v7 offset:21504                           // 000000013610: D86C5400 48000007
	ds_read_b32 v73, v7 offset:21568                           // 000000013618: D86C5440 49000007
	ds_read_b32 v74, v7 offset:21632                           // 000000013620: D86C5480 4A000007
	ds_read_b32 v75, v7 offset:21696                           // 000000013628: D86C54C0 4B000007
	ds_read_b32 v76, v7 offset:21760                           // 000000013630: D86C5500 4C000007
	ds_read_b32 v77, v7 offset:21824                           // 000000013638: D86C5540 4D000007
	ds_read_b32 v78, v7 offset:21888                           // 000000013640: D86C5580 4E000007
	ds_read_b32 v79, v7 offset:21952                           // 000000013648: D86C55C0 4F000007
	v_mul_f32_e32 v38, v49, v38                                // 000000013650: 0A4C4D31
	v_mov_b32_e32 v15, v112                                    // 000000013654: 7E1E0370
	v_add_f32_e32 v15, v113, v15                               // 000000013658: 021E1F71
	v_add_f32_e32 v15, v114, v15                               // 00000001365C: 021E1F72
	v_add_f32_e32 v15, v115, v15                               // 000000013660: 021E1F73
	v_add_f32_e32 v15, v116, v15                               // 000000013664: 021E1F74
	v_add_f32_e32 v15, v117, v15                               // 000000013668: 021E1F75
	v_add_f32_e32 v15, v118, v15                               // 00000001366C: 021E1F76
	v_add_f32_e32 v15, v119, v15                               // 000000013670: 021E1F77
	v_add_f32_e32 v15, v120, v15                               // 000000013674: 021E1F78
	v_add_f32_e32 v15, v121, v15                               // 000000013678: 021E1F79
	v_add_f32_e32 v15, v122, v15                               // 00000001367C: 021E1F7A
	v_add_f32_e32 v15, v123, v15                               // 000000013680: 021E1F7B
	v_add_f32_e32 v15, v124, v15                               // 000000013684: 021E1F7C
	v_add_f32_e32 v15, v125, v15                               // 000000013688: 021E1F7D
	v_add_f32_e32 v15, v126, v15                               // 00000001368C: 021E1F7E
	v_add_f32_e32 v15, v127, v15                               // 000000013690: 021E1F7F
	v_add_f32_e32 v38, v15, v38                                // 000000013694: 024C4D0F
	s_waitcnt lgkmcnt(0)                                       // 000000013698: BF8CC07F
	v_max3_f32 v48, |v64|, |v65|, v48                          // 00000001369C: D1D30330 04C28340
	v_max3_f32 v48, |v66|, |v67|, v48                          // 0000000136A4: D1D30330 04C28742
	v_max3_f32 v48, |v68|, |v69|, v48                          // 0000000136AC: D1D30330 04C28B44
	v_max3_f32 v48, |v70|, |v71|, v48                          // 0000000136B4: D1D30330 04C28F46
	v_max3_f32 v48, |v72|, |v73|, v48                          // 0000000136BC: D1D30330 04C29348
	v_max3_f32 v48, |v74|, |v75|, v48                          // 0000000136C4: D1D30330 04C2974A
	v_max3_f32 v48, |v76|, |v77|, v48                          // 0000000136CC: D1D30330 04C29B4C
	v_max3_f32 v48, |v78|, |v79|, v48                          // 0000000136D4: D1D30330 04C29F4E
	s_nop 2                                                    // 0000000136DC: BF800002
	v_rcp_f32_e32 v48, v48                                     // 0000000136E0: 7E604530
	s_nop 1                                                    // 0000000136E4: BF800001
	v_mul_f32_e32 v48, 0x42fe0000, v48                         // 0000000136E8: 0A6060FF 42FE0000
	v_mul_f32_e32 v112, v48, v240                              // 0000000136F0: 0AE1E130
	v_mul_f32_e32 v113, v48, v241                              // 0000000136F4: 0AE3E330
	v_mul_f32_e32 v114, v48, v242                              // 0000000136F8: 0AE5E530
	v_mul_f32_e32 v115, v48, v243                              // 0000000136FC: 0AE7E730
	v_mul_f32_e32 v116, v48, v244                              // 000000013700: 0AE9E930
	v_mul_f32_e32 v117, v48, v245                              // 000000013704: 0AEBEB30
	v_mul_f32_e32 v118, v48, v246                              // 000000013708: 0AEDED30
	v_mul_f32_e32 v119, v48, v247                              // 00000001370C: 0AEFEF30
	v_mul_f32_e32 v120, v48, v248                              // 000000013710: 0AF1F130
	v_mul_f32_e32 v121, v48, v249                              // 000000013714: 0AF3F330
	v_mul_f32_e32 v122, v48, v250                              // 000000013718: 0AF5F530
	v_mul_f32_e32 v123, v48, v251                              // 00000001371C: 0AF7F730
	v_mul_f32_e32 v124, v48, v252                              // 000000013720: 0AF9F930
	v_mul_f32_e32 v125, v48, v253                              // 000000013724: 0AFBFB30
	v_mul_f32_e32 v126, v48, v254                              // 000000013728: 0AFDFD30
	v_mul_f32_e32 v127, v48, v255                              // 00000001372C: 0AFFFF30
	v_cvt_i32_f32_e32 v112, v112                               // 000000013730: 7EE01170
	v_cvt_i32_f32_e32 v113, v113                               // 000000013734: 7EE21171
	v_cvt_i32_f32_e32 v114, v114                               // 000000013738: 7EE41172
	v_cvt_i32_f32_e32 v115, v115                               // 00000001373C: 7EE61173
	v_cvt_i32_f32_e32 v116, v116                               // 000000013740: 7EE81174
	v_cvt_i32_f32_e32 v117, v117                               // 000000013744: 7EEA1175
	v_cvt_i32_f32_e32 v118, v118                               // 000000013748: 7EEC1176
	v_cvt_i32_f32_e32 v119, v119                               // 00000001374C: 7EEE1177
	v_cvt_i32_f32_e32 v120, v120                               // 000000013750: 7EF01178
	v_cvt_i32_f32_e32 v121, v121                               // 000000013754: 7EF21179
	v_cvt_i32_f32_e32 v122, v122                               // 000000013758: 7EF4117A
	v_cvt_i32_f32_e32 v123, v123                               // 00000001375C: 7EF6117B
	v_cvt_i32_f32_e32 v124, v124                               // 000000013760: 7EF8117C
	v_cvt_i32_f32_e32 v125, v125                               // 000000013764: 7EFA117D
	v_cvt_i32_f32_e32 v126, v126                               // 000000013768: 7EFC117E
	v_cvt_i32_f32_e32 v127, v127                               // 00000001376C: 7EFE117F
	v_perm_b32 v112, v113, v112, s53                           // 000000013770: D1ED0070 00D6E171
	v_perm_b32 v112, v114, v112, s54                           // 000000013778: D1ED0070 00DAE172
	v_perm_b32 v112, v115, v112, s55                           // 000000013780: D1ED0070 00DEE173
	v_perm_b32 v113, v117, v116, s53                           // 000000013788: D1ED0071 00D6E975
	v_perm_b32 v113, v118, v113, s54                           // 000000013790: D1ED0071 00DAE376
	v_perm_b32 v113, v119, v113, s55                           // 000000013798: D1ED0071 00DEE377
	v_perm_b32 v114, v121, v120, s53                           // 0000000137A0: D1ED0072 00D6F179
	v_perm_b32 v114, v122, v114, s54                           // 0000000137A8: D1ED0072 00DAE57A
	v_perm_b32 v114, v123, v114, s55                           // 0000000137B0: D1ED0072 00DEE57B
	v_perm_b32 v115, v125, v124, s53                           // 0000000137B8: D1ED0073 00D6F97D
	v_perm_b32 v115, v126, v115, s54                           // 0000000137C0: D1ED0073 00DAE77E
	v_perm_b32 v115, v127, v115, s55                           // 0000000137C8: D1ED0073 00DEE77F
	ds_write_b32 v10, v112 offset:25088                        // 0000000137D0: D81A6200 0000700A
	ds_write_b32 v10, v113 offset:26112                        // 0000000137D8: D81A6600 0000710A
	ds_write_b32 v10, v114 offset:27136                        // 0000000137E0: D81A6A00 0000720A
	ds_write_b32 v10, v115 offset:28160                        // 0000000137E8: D81A6E00 0000730A
	v_add_f32_e32 v208, v208, v176                             // 0000000137F0: 03A161D0
	v_add_f32_e32 v209, v209, v177                             // 0000000137F4: 03A363D1
	v_add_f32_e32 v210, v210, v178                             // 0000000137F8: 03A565D2
	v_add_f32_e32 v211, v211, v179                             // 0000000137FC: 03A767D3
	v_add_f32_e32 v212, v212, v180                             // 000000013800: 03A969D4
	v_add_f32_e32 v213, v213, v181                             // 000000013804: 03AB6BD5
	v_add_f32_e32 v214, v214, v182                             // 000000013808: 03AD6DD6
	v_add_f32_e32 v215, v215, v183                             // 00000001380C: 03AF6FD7
	v_rcp_f32_e32 v44, v48                                     // 000000013810: 7E584530
	s_waitcnt lgkmcnt(0)                                       // 000000013814: BF8CC07F
	s_barrier                                                  // 000000013818: BF8A0000
	ds_read_b64 v[112:113], v9 offset:25088                    // 00000001381C: D8EC6200 70000009
	ds_read_b64 v[114:115], v9 offset:25216                    // 000000013824: D8EC6280 72000009
	ds_read_b64 v[116:117], v9 offset:26112                    // 00000001382C: D8EC6600 74000009
	ds_read_b64 v[118:119], v9 offset:26240                    // 000000013834: D8EC6680 76000009
	ds_read_b64 v[120:121], v9 offset:27136                    // 00000001383C: D8EC6A00 78000009
	ds_read_b64 v[122:123], v9 offset:27264                    // 000000013844: D8EC6A80 7A000009
	ds_read_b64 v[124:125], v9 offset:28160                    // 00000001384C: D8EC6E00 7C000009
	ds_read_b64 v[126:127], v9 offset:28288                    // 000000013854: D8EC6E80 7E000009
	v_mov_b32_dpp v64, v42 row_shr:4 row_mask:0xf bank_mask:0xf// 00000001385C: 7E8002FA FF01142A
	v_mov_b32_dpp v65, v42 row_shl:4 row_mask:0xf bank_mask:0xf// 000000013864: 7E8202FA FF01042A
	v_cndmask_b32_e64 v248, v42, v64, s[44:45]                 // 00000001386C: D10000F8 00B2812A
	v_cndmask_b32_e64 v249, v65, v42, s[44:45]                 // 000000013874: D10000F9 00B25541
	v_mov_b32_dpp v64, v248 row_shr:8 row_mask:0xf bank_mask:0xf// 00000001387C: 7E8002FA FF0118F8
	v_mov_b32_dpp v65, v248 row_shl:8 row_mask:0xf bank_mask:0xf// 000000013884: 7E8202FA FF0108F8
	v_mov_b32_dpp v66, v249 row_shr:8 row_mask:0xf bank_mask:0xf// 00000001388C: 7E8402FA FF0118F9
	v_mov_b32_dpp v67, v249 row_shl:8 row_mask:0xf bank_mask:0xf// 000000013894: 7E8602FA FF0108F9
	v_mov_b32_e32 v68, v248                                    // 00000001389C: 7E8803F8
	v_mov_b32_e32 v69, v249                                    // 0000000138A0: 7E8A03F9
	v_cndmask_b32_e64 v248, v68, v64, s[42:43]                 // 0000000138A4: D10000F8 00AA8144
	v_cndmask_b32_e64 v250, v68, v65, s[78:79]                 // 0000000138AC: D10000FA 013A8344
	v_cndmask_b32_e64 v249, v69, v66, s[42:43]                 // 0000000138B4: D10000F9 00AA8545
	v_cndmask_b32_e64 v251, v69, v67, s[78:79]                 // 0000000138BC: D10000FB 013A8745
	v_mov_b32_dpp v64, v57 row_shr:4 row_mask:0xf bank_mask:0xf// 0000000138C4: 7E8002FA FF011439
	v_mov_b32_dpp v65, v57 row_shl:4 row_mask:0xf bank_mask:0xf// 0000000138CC: 7E8202FA FF010439
	v_cndmask_b32_e64 v252, v57, v64, s[44:45]                 // 0000000138D4: D10000FC 00B28139
	v_cndmask_b32_e64 v253, v65, v57, s[44:45]                 // 0000000138DC: D10000FD 00B27341
	v_mov_b32_dpp v64, v252 row_shr:8 row_mask:0xf bank_mask:0xf// 0000000138E4: 7E8002FA FF0118FC
	v_mov_b32_dpp v65, v252 row_shl:8 row_mask:0xf bank_mask:0xf// 0000000138EC: 7E8202FA FF0108FC
	v_mov_b32_dpp v66, v253 row_shr:8 row_mask:0xf bank_mask:0xf// 0000000138F4: 7E8402FA FF0118FD
	v_mov_b32_dpp v67, v253 row_shl:8 row_mask:0xf bank_mask:0xf// 0000000138FC: 7E8602FA FF0108FD
	v_mov_b32_e32 v68, v252                                    // 000000013904: 7E8803FC
	v_mov_b32_e32 v69, v253                                    // 000000013908: 7E8A03FD
	v_cndmask_b32_e64 v252, v68, v64, s[42:43]                 // 00000001390C: D10000FC 00AA8144
	v_cndmask_b32_e64 v254, v68, v65, s[78:79]                 // 000000013914: D10000FE 013A8344
	v_cndmask_b32_e64 v253, v69, v66, s[42:43]                 // 00000001391C: D10000FD 00AA8545
	v_cndmask_b32_e64 v255, v69, v67, s[78:79]                 // 000000013924: D10000FF 013A8745
	v_cvt_f32_i32_e32 v128, v128                               // 00000001392C: 7F000B80
	v_cvt_f32_i32_e32 v129, v129                               // 000000013930: 7F020B81
	v_cvt_f32_i32_e32 v130, v130                               // 000000013934: 7F040B82
	v_cvt_f32_i32_e32 v131, v131                               // 000000013938: 7F060B83
	v_cvt_f32_i32_e32 v132, v132                               // 00000001393C: 7F080B84
	v_cvt_f32_i32_e32 v133, v133                               // 000000013940: 7F0A0B85
	v_cvt_f32_i32_e32 v134, v134                               // 000000013944: 7F0C0B86
	v_cvt_f32_i32_e32 v135, v135                               // 000000013948: 7F0E0B87
	v_cvt_f32_i32_e32 v136, v136                               // 00000001394C: 7F100B88
	v_cvt_f32_i32_e32 v137, v137                               // 000000013950: 7F120B89
	v_cvt_f32_i32_e32 v138, v138                               // 000000013954: 7F140B8A
	v_cvt_f32_i32_e32 v139, v139                               // 000000013958: 7F160B8B
	v_cvt_f32_i32_e32 v140, v140                               // 00000001395C: 7F180B8C
	v_cvt_f32_i32_e32 v141, v141                               // 000000013960: 7F1A0B8D
	v_cvt_f32_i32_e32 v142, v142                               // 000000013964: 7F1C0B8E
	v_cvt_f32_i32_e32 v143, v143                               // 000000013968: 7F1E0B8F
	v_mul_f32_e32 v128, v19, v128                              // 00000001396C: 0B010113
	v_mul_f32_e32 v129, v19, v129                              // 000000013970: 0B030313
	v_mul_f32_e32 v130, v19, v130                              // 000000013974: 0B050513
	v_mul_f32_e32 v131, v19, v131                              // 000000013978: 0B070713
	v_mul_f32_e32 v132, v19, v132                              // 00000001397C: 0B090913
	v_mul_f32_e32 v133, v19, v133                              // 000000013980: 0B0B0B13
	v_mul_f32_e32 v134, v19, v134                              // 000000013984: 0B0D0D13
	v_mul_f32_e32 v135, v19, v135                              // 000000013988: 0B0F0F13
	v_mul_f32_e32 v136, v19, v136                              // 00000001398C: 0B111113
	v_mul_f32_e32 v137, v19, v137                              // 000000013990: 0B131313
	v_mul_f32_e32 v138, v19, v138                              // 000000013994: 0B151513
	v_mul_f32_e32 v139, v19, v139                              // 000000013998: 0B171713
	v_mul_f32_e32 v140, v19, v140                              // 00000001399C: 0B191913
	v_mul_f32_e32 v141, v19, v141                              // 0000000139A0: 0B1B1B13
	v_mul_f32_e32 v142, v19, v142                              // 0000000139A4: 0B1D1D13
	v_mul_f32_e32 v143, v19, v143                              // 0000000139A8: 0B1F1F13
	v_mul_f32_dpp v128, v248, v128 quad_perm:[0,0,0,0] row_mask:0xf bank_mask:0xf// 0000000139AC: 0B0100FA FF0000F8
	v_mul_f32_dpp v129, v248, v129 quad_perm:[1,1,1,1] row_mask:0xf bank_mask:0xf// 0000000139B4: 0B0302FA FF0055F8
	v_mul_f32_dpp v130, v248, v130 quad_perm:[2,2,2,2] row_mask:0xf bank_mask:0xf// 0000000139BC: 0B0504FA FF00AAF8
	v_mul_f32_dpp v131, v248, v131 quad_perm:[3,3,3,3] row_mask:0xf bank_mask:0xf// 0000000139C4: 0B0706FA FF00FFF8
	v_mul_f32_dpp v132, v249, v132 quad_perm:[0,0,0,0] row_mask:0xf bank_mask:0xf// 0000000139CC: 0B0908FA FF0000F9
	v_mul_f32_dpp v133, v249, v133 quad_perm:[1,1,1,1] row_mask:0xf bank_mask:0xf// 0000000139D4: 0B0B0AFA FF0055F9
	v_mul_f32_dpp v134, v249, v134 quad_perm:[2,2,2,2] row_mask:0xf bank_mask:0xf// 0000000139DC: 0B0D0CFA FF00AAF9
	v_mul_f32_dpp v135, v249, v135 quad_perm:[3,3,3,3] row_mask:0xf bank_mask:0xf// 0000000139E4: 0B0F0EFA FF00FFF9
	v_mul_f32_dpp v136, v250, v136 quad_perm:[0,0,0,0] row_mask:0xf bank_mask:0xf// 0000000139EC: 0B1110FA FF0000FA
	v_mul_f32_dpp v137, v250, v137 quad_perm:[1,1,1,1] row_mask:0xf bank_mask:0xf// 0000000139F4: 0B1312FA FF0055FA
	v_mul_f32_dpp v138, v250, v138 quad_perm:[2,2,2,2] row_mask:0xf bank_mask:0xf// 0000000139FC: 0B1514FA FF00AAFA
	v_mul_f32_dpp v139, v250, v139 quad_perm:[3,3,3,3] row_mask:0xf bank_mask:0xf// 000000013A04: 0B1716FA FF00FFFA
	v_mul_f32_dpp v140, v251, v140 quad_perm:[0,0,0,0] row_mask:0xf bank_mask:0xf// 000000013A0C: 0B1918FA FF0000FB
	v_mul_f32_dpp v141, v251, v141 quad_perm:[1,1,1,1] row_mask:0xf bank_mask:0xf// 000000013A14: 0B1B1AFA FF0055FB
	v_mul_f32_dpp v142, v251, v142 quad_perm:[2,2,2,2] row_mask:0xf bank_mask:0xf// 000000013A1C: 0B1D1CFA FF00AAFB
	v_mul_f32_dpp v143, v251, v143 quad_perm:[3,3,3,3] row_mask:0xf bank_mask:0xf// 000000013A24: 0B1F1EFA FF00FFFB
	v_mov_b32_e32 v48, v128                                    // 000000013A2C: 7E600380
	v_max3_f32 v48, v128, v129, v48                            // 000000013A30: D1D30030 04C30380
	v_max3_f32 v48, v130, v131, v48                            // 000000013A38: D1D30030 04C30782
	v_max3_f32 v48, v132, v133, v48                            // 000000013A40: D1D30030 04C30B84
	v_max3_f32 v48, v134, v135, v48                            // 000000013A48: D1D30030 04C30F86
	v_max3_f32 v48, v136, v137, v48                            // 000000013A50: D1D30030 04C31388
	v_max3_f32 v48, v138, v139, v48                            // 000000013A58: D1D30030 04C3178A
	v_max3_f32 v48, v140, v141, v48                            // 000000013A60: D1D30030 04C31B8C
	v_max3_f32 v48, v142, v143, v48                            // 000000013A68: D1D30030 04C31F8E
	ds_write_b32 v8, v48 offset:16896                          // 000000013A70: D81A4200 00003008
	v_mul_f32_e32 v216, v50, v216                              // 000000013A78: 0BB1B132
	v_mul_f32_e32 v217, v50, v217                              // 000000013A7C: 0BB3B332
	v_mul_f32_e32 v218, v50, v218                              // 000000013A80: 0BB5B532
	v_mul_f32_e32 v219, v50, v219                              // 000000013A84: 0BB7B732
	v_mul_f32_e32 v220, v50, v220                              // 000000013A88: 0BB9B932
	v_mul_f32_e32 v221, v50, v221                              // 000000013A8C: 0BBBBB32
	v_mul_f32_e32 v222, v50, v222                              // 000000013A90: 0BBDBD32
	v_mul_f32_e32 v223, v50, v223                              // 000000013A94: 0BBFBF32
	s_waitcnt lgkmcnt(0)                                       // 000000013A98: BF8CC07F
	s_barrier                                                  // 000000013A9C: BF8A0000
	ds_read_b32 v64, v7 offset:16896                           // 000000013AA0: D86C4200 40000007
	ds_read_b32 v65, v7 offset:16960                           // 000000013AA8: D86C4240 41000007
	ds_read_b32 v66, v7 offset:17024                           // 000000013AB0: D86C4280 42000007
	ds_read_b32 v67, v7 offset:17088                           // 000000013AB8: D86C42C0 43000007
	ds_read_b32 v68, v7 offset:17152                           // 000000013AC0: D86C4300 44000007
	ds_read_b32 v69, v7 offset:17216                           // 000000013AC8: D86C4340 45000007
	ds_read_b32 v70, v7 offset:17280                           // 000000013AD0: D86C4380 46000007
	ds_read_b32 v71, v7 offset:17344                           // 000000013AD8: D86C43C0 47000007
	ds_read_b32 v72, v7 offset:17408                           // 000000013AE0: D86C4400 48000007
	ds_read_b32 v73, v7 offset:17472                           // 000000013AE8: D86C4440 49000007
	ds_read_b32 v74, v7 offset:17536                           // 000000013AF0: D86C4480 4A000007
	ds_read_b32 v75, v7 offset:17600                           // 000000013AF8: D86C44C0 4B000007
	ds_read_b32 v76, v7 offset:17664                           // 000000013B00: D86C4500 4C000007
	ds_read_b32 v77, v7 offset:17728                           // 000000013B08: D86C4540 4D000007
	ds_read_b32 v78, v7 offset:17792                           // 000000013B10: D86C4580 4E000007
	ds_read_b32 v79, v7 offset:17856                           // 000000013B18: D86C45C0 4F000007
	v_cvt_f32_i32_e32 v184, v184                               // 000000013B20: 7F700BB8
	v_cvt_f32_i32_e32 v185, v185                               // 000000013B24: 7F720BB9
	v_cvt_f32_i32_e32 v186, v186                               // 000000013B28: 7F740BBA
	v_cvt_f32_i32_e32 v187, v187                               // 000000013B2C: 7F760BBB
	v_cvt_f32_i32_e32 v188, v188                               // 000000013B30: 7F780BBC
	v_cvt_f32_i32_e32 v189, v189                               // 000000013B34: 7F7A0BBD
	v_cvt_f32_i32_e32 v190, v190                               // 000000013B38: 7F7C0BBE
	v_cvt_f32_i32_e32 v191, v191                               // 000000013B3C: 7F7E0BBF
	v_mul_f32_e32 v184, v45, v184                              // 000000013B40: 0B71712D
	v_mul_f32_e32 v185, v45, v185                              // 000000013B44: 0B73732D
	v_mul_f32_e32 v186, v45, v186                              // 000000013B48: 0B75752D
	v_mul_f32_e32 v187, v45, v187                              // 000000013B4C: 0B77772D
	v_mul_f32_e32 v188, v45, v188                              // 000000013B50: 0B79792D
	v_mul_f32_e32 v189, v45, v189                              // 000000013B54: 0B7B7B2D
	v_mul_f32_e32 v190, v45, v190                              // 000000013B58: 0B7D7D2D
	v_mul_f32_e32 v191, v45, v191                              // 000000013B5C: 0B7F7F2D
	s_waitcnt lgkmcnt(0)                                       // 000000013B60: BF8CC07F
	v_max3_f32 v48, v64, v65, v48                              // 000000013B64: D1D30030 04C28340
	v_max3_f32 v48, v66, v67, v48                              // 000000013B6C: D1D30030 04C28742
	v_max3_f32 v48, v68, v69, v48                              // 000000013B74: D1D30030 04C28B44
	v_max3_f32 v48, v70, v71, v48                              // 000000013B7C: D1D30030 04C28F46
	v_max3_f32 v48, v72, v73, v48                              // 000000013B84: D1D30030 04C29348
	v_max3_f32 v48, v74, v75, v48                              // 000000013B8C: D1D30030 04C2974A
	v_max3_f32 v48, v76, v77, v48                              // 000000013B94: D1D30030 04C29B4C
	v_max3_f32 v48, v78, v79, v48                              // 000000013B9C: D1D30030 04C29F4E
	v_mov_b32_e32 v64, 0xff800000                              // 000000013BA4: 7E8002FF FF800000
	v_cmp_eq_u32_e64 s[40:41], v64, v12                        // 000000013BAC: D0CA0028 00021940
	s_nop 1                                                    // 000000013BB4: BF800001
	v_max_f32_e32 v15, v48, v12                                // 000000013BB8: 161E1930
	v_mul_f32_e32 v53, s64, v15                                // 000000013BBC: 0A6A1E40
	v_fma_f32 v128, v128, s64, -v53                            // 000000013BC0: D1CB0080 84D48180
	v_fma_f32 v129, v129, s64, -v53                            // 000000013BC8: D1CB0081 84D48181
	v_fma_f32 v130, v130, s64, -v53                            // 000000013BD0: D1CB0082 84D48182
	v_fma_f32 v131, v131, s64, -v53                            // 000000013BD8: D1CB0083 84D48183
	v_fma_f32 v132, v132, s64, -v53                            // 000000013BE0: D1CB0084 84D48184
	v_fma_f32 v133, v133, s64, -v53                            // 000000013BE8: D1CB0085 84D48185
	v_fma_f32 v134, v134, s64, -v53                            // 000000013BF0: D1CB0086 84D48186
	v_fma_f32 v135, v135, s64, -v53                            // 000000013BF8: D1CB0087 84D48187
	v_fma_f32 v136, v136, s64, -v53                            // 000000013C00: D1CB0088 84D48188
	v_fma_f32 v137, v137, s64, -v53                            // 000000013C08: D1CB0089 84D48189
	v_fma_f32 v138, v138, s64, -v53                            // 000000013C10: D1CB008A 84D4818A
	v_fma_f32 v139, v139, s64, -v53                            // 000000013C18: D1CB008B 84D4818B
	v_fma_f32 v140, v140, s64, -v53                            // 000000013C20: D1CB008C 84D4818C
	v_fma_f32 v141, v141, s64, -v53                            // 000000013C28: D1CB008D 84D4818D
	v_fma_f32 v142, v142, s64, -v53                            // 000000013C30: D1CB008E 84D4818E
	v_fma_f32 v143, v143, s64, -v53                            // 000000013C38: D1CB008F 84D4818F
	v_exp_f32_e32 v128, v128                                   // 000000013C40: 7F004180
	v_exp_f32_e32 v129, v129                                   // 000000013C44: 7F024181
	v_exp_f32_e32 v130, v130                                   // 000000013C48: 7F044182
	v_exp_f32_e32 v131, v131                                   // 000000013C4C: 7F064183
	v_exp_f32_e32 v132, v132                                   // 000000013C50: 7F084184
	v_exp_f32_e32 v133, v133                                   // 000000013C54: 7F0A4185
	v_exp_f32_e32 v134, v134                                   // 000000013C58: 7F0C4186
	v_exp_f32_e32 v135, v135                                   // 000000013C5C: 7F0E4187
	v_exp_f32_e32 v136, v136                                   // 000000013C60: 7F104188
	v_exp_f32_e32 v137, v137                                   // 000000013C64: 7F124189
	v_exp_f32_e32 v138, v138                                   // 000000013C68: 7F14418A
	v_exp_f32_e32 v139, v139                                   // 000000013C6C: 7F16418B
	v_exp_f32_e32 v140, v140                                   // 000000013C70: 7F18418C
	v_exp_f32_e32 v141, v141                                   // 000000013C74: 7F1A418D
	v_exp_f32_e32 v142, v142                                   // 000000013C78: 7F1C418E
	v_exp_f32_e32 v143, v143                                   // 000000013C7C: 7F1E418F
	v_mul_f32_dpp v240, v252, v128 quad_perm:[0,0,0,0] row_mask:0xf bank_mask:0xf// 000000013C80: 0BE100FA FF0000FC
	v_mul_f32_dpp v241, v252, v129 quad_perm:[1,1,1,1] row_mask:0xf bank_mask:0xf// 000000013C88: 0BE302FA FF0055FC
	v_mul_f32_dpp v242, v252, v130 quad_perm:[2,2,2,2] row_mask:0xf bank_mask:0xf// 000000013C90: 0BE504FA FF00AAFC
	v_mul_f32_dpp v243, v252, v131 quad_perm:[3,3,3,3] row_mask:0xf bank_mask:0xf// 000000013C98: 0BE706FA FF00FFFC
	v_mul_f32_dpp v244, v253, v132 quad_perm:[0,0,0,0] row_mask:0xf bank_mask:0xf// 000000013CA0: 0BE908FA FF0000FD
	v_mul_f32_dpp v245, v253, v133 quad_perm:[1,1,1,1] row_mask:0xf bank_mask:0xf// 000000013CA8: 0BEB0AFA FF0055FD
	v_mul_f32_dpp v246, v253, v134 quad_perm:[2,2,2,2] row_mask:0xf bank_mask:0xf// 000000013CB0: 0BED0CFA FF00AAFD
	v_mul_f32_dpp v247, v253, v135 quad_perm:[3,3,3,3] row_mask:0xf bank_mask:0xf// 000000013CB8: 0BEF0EFA FF00FFFD
	v_mul_f32_dpp v248, v254, v136 quad_perm:[0,0,0,0] row_mask:0xf bank_mask:0xf// 000000013CC0: 0BF110FA FF0000FE
	v_mul_f32_dpp v249, v254, v137 quad_perm:[1,1,1,1] row_mask:0xf bank_mask:0xf// 000000013CC8: 0BF312FA FF0055FE
	v_mul_f32_dpp v250, v254, v138 quad_perm:[2,2,2,2] row_mask:0xf bank_mask:0xf// 000000013CD0: 0BF514FA FF00AAFE
	v_mul_f32_dpp v251, v254, v139 quad_perm:[3,3,3,3] row_mask:0xf bank_mask:0xf// 000000013CD8: 0BF716FA FF00FFFE
	v_mul_f32_dpp v252, v255, v140 quad_perm:[0,0,0,0] row_mask:0xf bank_mask:0xf// 000000013CE0: 0BF918FA FF0000FF
	v_mul_f32_dpp v253, v255, v141 quad_perm:[1,1,1,1] row_mask:0xf bank_mask:0xf// 000000013CE8: 0BFB1AFA FF0055FF
	v_mul_f32_dpp v254, v255, v142 quad_perm:[2,2,2,2] row_mask:0xf bank_mask:0xf// 000000013CF0: 0BFD1CFA FF00AAFF
	v_mul_f32_dpp v255, v255, v143 quad_perm:[3,3,3,3] row_mask:0xf bank_mask:0xf// 000000013CF8: 0BFF1EFA FF00FFFF
	v_mov_b32_e32 v48, 0x358637bd                              // 000000013D00: 7E6002FF 358637BD
	v_max3_f32 v48, |v240|, |v241|, v48                        // 000000013D08: D1D30330 04C3E3F0
	v_max3_f32 v48, |v242|, |v243|, v48                        // 000000013D10: D1D30330 04C3E7F2
	v_max3_f32 v48, |v244|, |v245|, v48                        // 000000013D18: D1D30330 04C3EBF4
	v_max3_f32 v48, |v246|, |v247|, v48                        // 000000013D20: D1D30330 04C3EFF6
	v_max3_f32 v48, |v248|, |v249|, v48                        // 000000013D28: D1D30330 04C3F3F8
	v_max3_f32 v48, |v250|, |v251|, v48                        // 000000013D30: D1D30330 04C3F7FA
	v_max3_f32 v48, |v252|, |v253|, v48                        // 000000013D38: D1D30330 04C3FBFC
	v_max3_f32 v48, |v254|, |v255|, v48                        // 000000013D40: D1D30330 04C3FFFE
	ds_write_b32 v8, v48 offset:20992                          // 000000013D48: D81A5200 00003008
	v_sub_f32_e32 v50, v12, v15                                // 000000013D50: 04641F0C
	v_cndmask_b32_e64 v50, v50, 0, s[40:41]                    // 000000013D54: D1000032 00A10132
	v_mov_b32_e32 v12, v15                                     // 000000013D5C: 7E18030F
	v_mul_f32_e32 v50, s64, v50                                // 000000013D60: 0A646440
	v_exp_f32_e32 v50, v50                                     // 000000013D64: 7E644132
	s_waitcnt lgkmcnt(0)                                       // 000000013D68: BF8CC07F
	s_barrier                                                  // 000000013D6C: BF8A0000
	ds_read_b32 v64, v7 offset:20992                           // 000000013D70: D86C5200 40000007
	ds_read_b32 v65, v7 offset:21056                           // 000000013D78: D86C5240 41000007
	ds_read_b32 v66, v7 offset:21120                           // 000000013D80: D86C5280 42000007
	ds_read_b32 v67, v7 offset:21184                           // 000000013D88: D86C52C0 43000007
	ds_read_b32 v68, v7 offset:21248                           // 000000013D90: D86C5300 44000007
	ds_read_b32 v69, v7 offset:21312                           // 000000013D98: D86C5340 45000007
	ds_read_b32 v70, v7 offset:21376                           // 000000013DA0: D86C5380 46000007
	ds_read_b32 v71, v7 offset:21440                           // 000000013DA8: D86C53C0 47000007
	ds_read_b32 v72, v7 offset:21504                           // 000000013DB0: D86C5400 48000007
	ds_read_b32 v73, v7 offset:21568                           // 000000013DB8: D86C5440 49000007
	ds_read_b32 v74, v7 offset:21632                           // 000000013DC0: D86C5480 4A000007
	ds_read_b32 v75, v7 offset:21696                           // 000000013DC8: D86C54C0 4B000007
	ds_read_b32 v76, v7 offset:21760                           // 000000013DD0: D86C5500 4C000007
	ds_read_b32 v77, v7 offset:21824                           // 000000013DD8: D86C5540 4D000007
	ds_read_b32 v78, v7 offset:21888                           // 000000013DE0: D86C5580 4E000007
	ds_read_b32 v79, v7 offset:21952                           // 000000013DE8: D86C55C0 4F000007
	v_mul_f32_e32 v39, v50, v39                                // 000000013DF0: 0A4E4F32
	v_mov_b32_e32 v15, v128                                    // 000000013DF4: 7E1E0380
	v_add_f32_e32 v15, v129, v15                               // 000000013DF8: 021E1F81
	v_add_f32_e32 v15, v130, v15                               // 000000013DFC: 021E1F82
	v_add_f32_e32 v15, v131, v15                               // 000000013E00: 021E1F83
	v_add_f32_e32 v15, v132, v15                               // 000000013E04: 021E1F84
	v_add_f32_e32 v15, v133, v15                               // 000000013E08: 021E1F85
	v_add_f32_e32 v15, v134, v15                               // 000000013E0C: 021E1F86
	v_add_f32_e32 v15, v135, v15                               // 000000013E10: 021E1F87
	v_add_f32_e32 v15, v136, v15                               // 000000013E14: 021E1F88
	v_add_f32_e32 v15, v137, v15                               // 000000013E18: 021E1F89
	v_add_f32_e32 v15, v138, v15                               // 000000013E1C: 021E1F8A
	v_add_f32_e32 v15, v139, v15                               // 000000013E20: 021E1F8B
	v_add_f32_e32 v15, v140, v15                               // 000000013E24: 021E1F8C
	v_add_f32_e32 v15, v141, v15                               // 000000013E28: 021E1F8D
	v_add_f32_e32 v15, v142, v15                               // 000000013E2C: 021E1F8E
	v_add_f32_e32 v15, v143, v15                               // 000000013E30: 021E1F8F
	v_add_f32_e32 v39, v15, v39                                // 000000013E34: 024E4F0F
	s_waitcnt lgkmcnt(0)                                       // 000000013E38: BF8CC07F
	v_max3_f32 v48, |v64|, |v65|, v48                          // 000000013E3C: D1D30330 04C28340
	v_max3_f32 v48, |v66|, |v67|, v48                          // 000000013E44: D1D30330 04C28742
	v_max3_f32 v48, |v68|, |v69|, v48                          // 000000013E4C: D1D30330 04C28B44
	v_max3_f32 v48, |v70|, |v71|, v48                          // 000000013E54: D1D30330 04C28F46
	v_max3_f32 v48, |v72|, |v73|, v48                          // 000000013E5C: D1D30330 04C29348
	v_max3_f32 v48, |v74|, |v75|, v48                          // 000000013E64: D1D30330 04C2974A
	v_max3_f32 v48, |v76|, |v77|, v48                          // 000000013E6C: D1D30330 04C29B4C
	v_max3_f32 v48, |v78|, |v79|, v48                          // 000000013E74: D1D30330 04C29F4E
	s_nop 2                                                    // 000000013E7C: BF800002
	v_rcp_f32_e32 v48, v48                                     // 000000013E80: 7E604530
	s_nop 1                                                    // 000000013E84: BF800001
	v_mul_f32_e32 v48, 0x42fe0000, v48                         // 000000013E88: 0A6060FF 42FE0000
	v_mul_f32_e32 v128, v48, v240                              // 000000013E90: 0B01E130
	v_mul_f32_e32 v129, v48, v241                              // 000000013E94: 0B03E330
	v_mul_f32_e32 v130, v48, v242                              // 000000013E98: 0B05E530
	v_mul_f32_e32 v131, v48, v243                              // 000000013E9C: 0B07E730
	v_mul_f32_e32 v132, v48, v244                              // 000000013EA0: 0B09E930
	v_mul_f32_e32 v133, v48, v245                              // 000000013EA4: 0B0BEB30
	v_mul_f32_e32 v134, v48, v246                              // 000000013EA8: 0B0DED30
	v_mul_f32_e32 v135, v48, v247                              // 000000013EAC: 0B0FEF30
	v_mul_f32_e32 v136, v48, v248                              // 000000013EB0: 0B11F130
	v_mul_f32_e32 v137, v48, v249                              // 000000013EB4: 0B13F330
	v_mul_f32_e32 v138, v48, v250                              // 000000013EB8: 0B15F530
	v_mul_f32_e32 v139, v48, v251                              // 000000013EBC: 0B17F730
	v_mul_f32_e32 v140, v48, v252                              // 000000013EC0: 0B19F930
	v_mul_f32_e32 v141, v48, v253                              // 000000013EC4: 0B1BFB30
	v_mul_f32_e32 v142, v48, v254                              // 000000013EC8: 0B1DFD30
	v_mul_f32_e32 v143, v48, v255                              // 000000013ECC: 0B1FFF30
	v_cvt_i32_f32_e32 v128, v128                               // 000000013ED0: 7F001180
	v_cvt_i32_f32_e32 v129, v129                               // 000000013ED4: 7F021181
	v_cvt_i32_f32_e32 v130, v130                               // 000000013ED8: 7F041182
	v_cvt_i32_f32_e32 v131, v131                               // 000000013EDC: 7F061183
	v_cvt_i32_f32_e32 v132, v132                               // 000000013EE0: 7F081184
	v_cvt_i32_f32_e32 v133, v133                               // 000000013EE4: 7F0A1185
	v_cvt_i32_f32_e32 v134, v134                               // 000000013EE8: 7F0C1186
	v_cvt_i32_f32_e32 v135, v135                               // 000000013EEC: 7F0E1187
	v_cvt_i32_f32_e32 v136, v136                               // 000000013EF0: 7F101188
	v_cvt_i32_f32_e32 v137, v137                               // 000000013EF4: 7F121189
	v_cvt_i32_f32_e32 v138, v138                               // 000000013EF8: 7F14118A
	v_cvt_i32_f32_e32 v139, v139                               // 000000013EFC: 7F16118B
	v_cvt_i32_f32_e32 v140, v140                               // 000000013F00: 7F18118C
	v_cvt_i32_f32_e32 v141, v141                               // 000000013F04: 7F1A118D
	v_cvt_i32_f32_e32 v142, v142                               // 000000013F08: 7F1C118E
	v_cvt_i32_f32_e32 v143, v143                               // 000000013F0C: 7F1E118F
	v_perm_b32 v128, v129, v128, s53                           // 000000013F10: D1ED0080 00D70181
	v_perm_b32 v128, v130, v128, s54                           // 000000013F18: D1ED0080 00DB0182
	v_perm_b32 v128, v131, v128, s55                           // 000000013F20: D1ED0080 00DF0183
	v_perm_b32 v129, v133, v132, s53                           // 000000013F28: D1ED0081 00D70985
	v_perm_b32 v129, v134, v129, s54                           // 000000013F30: D1ED0081 00DB0386
	v_perm_b32 v129, v135, v129, s55                           // 000000013F38: D1ED0081 00DF0387
	v_perm_b32 v130, v137, v136, s53                           // 000000013F40: D1ED0082 00D71189
	v_perm_b32 v130, v138, v130, s54                           // 000000013F48: D1ED0082 00DB058A
	v_perm_b32 v130, v139, v130, s55                           // 000000013F50: D1ED0082 00DF058B
	v_perm_b32 v131, v141, v140, s53                           // 000000013F58: D1ED0083 00D7198D
	v_perm_b32 v131, v142, v131, s54                           // 000000013F60: D1ED0083 00DB078E
	v_perm_b32 v131, v143, v131, s55                           // 000000013F68: D1ED0083 00DF078F
	ds_write_b32 v10, v128 offset:29184                        // 000000013F70: D81A7200 0000800A
	ds_write_b32 v10, v129 offset:30208                        // 000000013F78: D81A7600 0000810A
	ds_write_b32 v10, v130 offset:31232                        // 000000013F80: D81A7A00 0000820A
	ds_write_b32 v10, v131 offset:32256                        // 000000013F88: D81A7E00 0000830A
	v_add_f32_e32 v216, v216, v184                             // 000000013F90: 03B171D8
	v_add_f32_e32 v217, v217, v185                             // 000000013F94: 03B373D9
	v_add_f32_e32 v218, v218, v186                             // 000000013F98: 03B575DA
	v_add_f32_e32 v219, v219, v187                             // 000000013F9C: 03B777DB
	v_add_f32_e32 v220, v220, v188                             // 000000013FA0: 03B979DC
	v_add_f32_e32 v221, v221, v189                             // 000000013FA4: 03BB7BDD
	v_add_f32_e32 v222, v222, v190                             // 000000013FA8: 03BD7DDE
	v_add_f32_e32 v223, v223, v191                             // 000000013FAC: 03BF7FDF
	v_rcp_f32_e32 v45, v48                                     // 000000013FB0: 7E5A4530
	s_waitcnt lgkmcnt(0)                                       // 000000013FB4: BF8CC07F
	s_barrier                                                  // 000000013FB8: BF8A0000
	ds_read_b64 v[128:129], v9 offset:29184                    // 000000013FBC: D8EC7200 80000009
	ds_read_b64 v[130:131], v9 offset:29312                    // 000000013FC4: D8EC7280 82000009
	ds_read_b64 v[132:133], v9 offset:30208                    // 000000013FCC: D8EC7600 84000009
	ds_read_b64 v[134:135], v9 offset:30336                    // 000000013FD4: D8EC7680 86000009
	ds_read_b64 v[136:137], v9 offset:31232                    // 000000013FDC: D8EC7A00 88000009
	ds_read_b64 v[138:139], v9 offset:31360                    // 000000013FE4: D8EC7A80 8A000009
	ds_read_b64 v[140:141], v9 offset:32256                    // 000000013FEC: D8EC7E00 8C000009
	ds_read_b64 v[142:143], v9 offset:32384                    // 000000013FF4: D8EC7E80 8E000009
	v_mov_b32_dpp v64, v42 row_shr:4 row_mask:0xf bank_mask:0xf// 000000013FFC: 7E8002FA FF01142A
	v_mov_b32_dpp v65, v42 row_shl:4 row_mask:0xf bank_mask:0xf// 000000014004: 7E8202FA FF01042A
	v_cndmask_b32_e64 v248, v42, v64, s[44:45]                 // 00000001400C: D10000F8 00B2812A
	v_cndmask_b32_e64 v249, v65, v42, s[44:45]                 // 000000014014: D10000F9 00B25541
	v_mov_b32_dpp v64, v248 row_shr:8 row_mask:0xf bank_mask:0xf// 00000001401C: 7E8002FA FF0118F8
	v_mov_b32_dpp v65, v248 row_shl:8 row_mask:0xf bank_mask:0xf// 000000014024: 7E8202FA FF0108F8
	v_mov_b32_dpp v66, v249 row_shr:8 row_mask:0xf bank_mask:0xf// 00000001402C: 7E8402FA FF0118F9
	v_mov_b32_dpp v67, v249 row_shl:8 row_mask:0xf bank_mask:0xf// 000000014034: 7E8602FA FF0108F9
	v_mov_b32_e32 v68, v248                                    // 00000001403C: 7E8803F8
	v_mov_b32_e32 v69, v249                                    // 000000014040: 7E8A03F9
	v_cndmask_b32_e64 v248, v68, v64, s[42:43]                 // 000000014044: D10000F8 00AA8144
	v_cndmask_b32_e64 v250, v68, v65, s[78:79]                 // 00000001404C: D10000FA 013A8344
	v_cndmask_b32_e64 v249, v69, v66, s[42:43]                 // 000000014054: D10000F9 00AA8545
	v_cndmask_b32_e64 v251, v69, v67, s[78:79]                 // 00000001405C: D10000FB 013A8745
	v_mov_b32_dpp v64, v57 row_shr:4 row_mask:0xf bank_mask:0xf// 000000014064: 7E8002FA FF011439
	v_mov_b32_dpp v65, v57 row_shl:4 row_mask:0xf bank_mask:0xf// 00000001406C: 7E8202FA FF010439
	v_cndmask_b32_e64 v252, v57, v64, s[44:45]                 // 000000014074: D10000FC 00B28139
	v_cndmask_b32_e64 v253, v65, v57, s[44:45]                 // 00000001407C: D10000FD 00B27341
	v_mov_b32_dpp v64, v252 row_shr:8 row_mask:0xf bank_mask:0xf// 000000014084: 7E8002FA FF0118FC
	v_mov_b32_dpp v65, v252 row_shl:8 row_mask:0xf bank_mask:0xf// 00000001408C: 7E8202FA FF0108FC
	v_mov_b32_dpp v66, v253 row_shr:8 row_mask:0xf bank_mask:0xf// 000000014094: 7E8402FA FF0118FD
	v_mov_b32_dpp v67, v253 row_shl:8 row_mask:0xf bank_mask:0xf// 00000001409C: 7E8602FA FF0108FD
	v_mov_b32_e32 v68, v252                                    // 0000000140A4: 7E8803FC
	v_mov_b32_e32 v69, v253                                    // 0000000140A8: 7E8A03FD
	v_cndmask_b32_e64 v252, v68, v64, s[42:43]                 // 0000000140AC: D10000FC 00AA8144
	v_cndmask_b32_e64 v254, v68, v65, s[78:79]                 // 0000000140B4: D10000FE 013A8344
	v_cndmask_b32_e64 v253, v69, v66, s[42:43]                 // 0000000140BC: D10000FD 00AA8545
	v_cndmask_b32_e64 v255, v69, v67, s[78:79]                 // 0000000140C4: D10000FF 013A8745
	v_cvt_f32_i32_e32 v144, v144                               // 0000000140CC: 7F200B90
	v_cvt_f32_i32_e32 v145, v145                               // 0000000140D0: 7F220B91
	v_cvt_f32_i32_e32 v146, v146                               // 0000000140D4: 7F240B92
	v_cvt_f32_i32_e32 v147, v147                               // 0000000140D8: 7F260B93
	v_cvt_f32_i32_e32 v148, v148                               // 0000000140DC: 7F280B94
	v_cvt_f32_i32_e32 v149, v149                               // 0000000140E0: 7F2A0B95
	v_cvt_f32_i32_e32 v150, v150                               // 0000000140E4: 7F2C0B96
	v_cvt_f32_i32_e32 v151, v151                               // 0000000140E8: 7F2E0B97
	v_cvt_f32_i32_e32 v152, v152                               // 0000000140EC: 7F300B98
	v_cvt_f32_i32_e32 v153, v153                               // 0000000140F0: 7F320B99
	v_cvt_f32_i32_e32 v154, v154                               // 0000000140F4: 7F340B9A
	v_cvt_f32_i32_e32 v155, v155                               // 0000000140F8: 7F360B9B
	v_cvt_f32_i32_e32 v156, v156                               // 0000000140FC: 7F380B9C
	v_cvt_f32_i32_e32 v157, v157                               // 000000014100: 7F3A0B9D
	v_cvt_f32_i32_e32 v158, v158                               // 000000014104: 7F3C0B9E
	v_cvt_f32_i32_e32 v159, v159                               // 000000014108: 7F3E0B9F
	v_mul_f32_e32 v144, v20, v144                              // 00000001410C: 0B212114
	v_mul_f32_e32 v145, v20, v145                              // 000000014110: 0B232314
	v_mul_f32_e32 v146, v20, v146                              // 000000014114: 0B252514
	v_mul_f32_e32 v147, v20, v147                              // 000000014118: 0B272714
	v_mul_f32_e32 v148, v20, v148                              // 00000001411C: 0B292914
	v_mul_f32_e32 v149, v20, v149                              // 000000014120: 0B2B2B14
	v_mul_f32_e32 v150, v20, v150                              // 000000014124: 0B2D2D14
	v_mul_f32_e32 v151, v20, v151                              // 000000014128: 0B2F2F14
	v_mul_f32_e32 v152, v20, v152                              // 00000001412C: 0B313114
	v_mul_f32_e32 v153, v20, v153                              // 000000014130: 0B333314
	v_mul_f32_e32 v154, v20, v154                              // 000000014134: 0B353514
	v_mul_f32_e32 v155, v20, v155                              // 000000014138: 0B373714
	v_mul_f32_e32 v156, v20, v156                              // 00000001413C: 0B393914
	v_mul_f32_e32 v157, v20, v157                              // 000000014140: 0B3B3B14
	v_mul_f32_e32 v158, v20, v158                              // 000000014144: 0B3D3D14
	v_mul_f32_e32 v159, v20, v159                              // 000000014148: 0B3F3F14
	v_mul_f32_dpp v144, v248, v144 quad_perm:[0,0,0,0] row_mask:0xf bank_mask:0xf// 00000001414C: 0B2120FA FF0000F8
	v_mul_f32_dpp v145, v248, v145 quad_perm:[1,1,1,1] row_mask:0xf bank_mask:0xf// 000000014154: 0B2322FA FF0055F8
	v_mul_f32_dpp v146, v248, v146 quad_perm:[2,2,2,2] row_mask:0xf bank_mask:0xf// 00000001415C: 0B2524FA FF00AAF8
	v_mul_f32_dpp v147, v248, v147 quad_perm:[3,3,3,3] row_mask:0xf bank_mask:0xf// 000000014164: 0B2726FA FF00FFF8
	v_mul_f32_dpp v148, v249, v148 quad_perm:[0,0,0,0] row_mask:0xf bank_mask:0xf// 00000001416C: 0B2928FA FF0000F9
	v_mul_f32_dpp v149, v249, v149 quad_perm:[1,1,1,1] row_mask:0xf bank_mask:0xf// 000000014174: 0B2B2AFA FF0055F9
	v_mul_f32_dpp v150, v249, v150 quad_perm:[2,2,2,2] row_mask:0xf bank_mask:0xf// 00000001417C: 0B2D2CFA FF00AAF9
	v_mul_f32_dpp v151, v249, v151 quad_perm:[3,3,3,3] row_mask:0xf bank_mask:0xf// 000000014184: 0B2F2EFA FF00FFF9
	v_mul_f32_dpp v152, v250, v152 quad_perm:[0,0,0,0] row_mask:0xf bank_mask:0xf// 00000001418C: 0B3130FA FF0000FA
	v_mul_f32_dpp v153, v250, v153 quad_perm:[1,1,1,1] row_mask:0xf bank_mask:0xf// 000000014194: 0B3332FA FF0055FA
	v_mul_f32_dpp v154, v250, v154 quad_perm:[2,2,2,2] row_mask:0xf bank_mask:0xf// 00000001419C: 0B3534FA FF00AAFA
	v_mul_f32_dpp v155, v250, v155 quad_perm:[3,3,3,3] row_mask:0xf bank_mask:0xf// 0000000141A4: 0B3736FA FF00FFFA
	v_mul_f32_dpp v156, v251, v156 quad_perm:[0,0,0,0] row_mask:0xf bank_mask:0xf// 0000000141AC: 0B3938FA FF0000FB
	v_mul_f32_dpp v157, v251, v157 quad_perm:[1,1,1,1] row_mask:0xf bank_mask:0xf// 0000000141B4: 0B3B3AFA FF0055FB
	v_mul_f32_dpp v158, v251, v158 quad_perm:[2,2,2,2] row_mask:0xf bank_mask:0xf// 0000000141BC: 0B3D3CFA FF00AAFB
	v_mul_f32_dpp v159, v251, v159 quad_perm:[3,3,3,3] row_mask:0xf bank_mask:0xf// 0000000141C4: 0B3F3EFA FF00FFFB
	v_mov_b32_e32 v48, v144                                    // 0000000141CC: 7E600390
	v_max3_f32 v48, v144, v145, v48                            // 0000000141D0: D1D30030 04C32390
	v_max3_f32 v48, v146, v147, v48                            // 0000000141D8: D1D30030 04C32792
	v_max3_f32 v48, v148, v149, v48                            // 0000000141E0: D1D30030 04C32B94
	v_max3_f32 v48, v150, v151, v48                            // 0000000141E8: D1D30030 04C32F96
	v_max3_f32 v48, v152, v153, v48                            // 0000000141F0: D1D30030 04C33398
	v_max3_f32 v48, v154, v155, v48                            // 0000000141F8: D1D30030 04C3379A
	v_max3_f32 v48, v156, v157, v48                            // 000000014200: D1D30030 04C33B9C
	v_max3_f32 v48, v158, v159, v48                            // 000000014208: D1D30030 04C33F9E
	ds_write_b32 v8, v48 offset:16896                          // 000000014210: D81A4200 00003008
	v_mul_f32_e32 v224, v51, v224                              // 000000014218: 0BC1C133
	v_mul_f32_e32 v225, v51, v225                              // 00000001421C: 0BC3C333
	v_mul_f32_e32 v226, v51, v226                              // 000000014220: 0BC5C533
	v_mul_f32_e32 v227, v51, v227                              // 000000014224: 0BC7C733
	v_mul_f32_e32 v228, v51, v228                              // 000000014228: 0BC9C933
	v_mul_f32_e32 v229, v51, v229                              // 00000001422C: 0BCBCB33
	v_mul_f32_e32 v230, v51, v230                              // 000000014230: 0BCDCD33
	v_mul_f32_e32 v231, v51, v231                              // 000000014234: 0BCFCF33
	s_waitcnt lgkmcnt(0)                                       // 000000014238: BF8CC07F
	s_barrier                                                  // 00000001423C: BF8A0000
	ds_read_b32 v64, v7 offset:16896                           // 000000014240: D86C4200 40000007
	ds_read_b32 v65, v7 offset:16960                           // 000000014248: D86C4240 41000007
	ds_read_b32 v66, v7 offset:17024                           // 000000014250: D86C4280 42000007
	ds_read_b32 v67, v7 offset:17088                           // 000000014258: D86C42C0 43000007
	ds_read_b32 v68, v7 offset:17152                           // 000000014260: D86C4300 44000007
	ds_read_b32 v69, v7 offset:17216                           // 000000014268: D86C4340 45000007
	ds_read_b32 v70, v7 offset:17280                           // 000000014270: D86C4380 46000007
	ds_read_b32 v71, v7 offset:17344                           // 000000014278: D86C43C0 47000007
	ds_read_b32 v72, v7 offset:17408                           // 000000014280: D86C4400 48000007
	ds_read_b32 v73, v7 offset:17472                           // 000000014288: D86C4440 49000007
	ds_read_b32 v74, v7 offset:17536                           // 000000014290: D86C4480 4A000007
	ds_read_b32 v75, v7 offset:17600                           // 000000014298: D86C44C0 4B000007
	ds_read_b32 v76, v7 offset:17664                           // 0000000142A0: D86C4500 4C000007
	ds_read_b32 v77, v7 offset:17728                           // 0000000142A8: D86C4540 4D000007
	ds_read_b32 v78, v7 offset:17792                           // 0000000142B0: D86C4580 4E000007
	ds_read_b32 v79, v7 offset:17856                           // 0000000142B8: D86C45C0 4F000007
	v_cvt_f32_i32_e32 v192, v192                               // 0000000142C0: 7F800BC0
	v_cvt_f32_i32_e32 v193, v193                               // 0000000142C4: 7F820BC1
	v_cvt_f32_i32_e32 v194, v194                               // 0000000142C8: 7F840BC2
	v_cvt_f32_i32_e32 v195, v195                               // 0000000142CC: 7F860BC3
	v_cvt_f32_i32_e32 v196, v196                               // 0000000142D0: 7F880BC4
	v_cvt_f32_i32_e32 v197, v197                               // 0000000142D4: 7F8A0BC5
	v_cvt_f32_i32_e32 v198, v198                               // 0000000142D8: 7F8C0BC6
	v_cvt_f32_i32_e32 v199, v199                               // 0000000142DC: 7F8E0BC7
	v_mul_f32_e32 v192, v46, v192                              // 0000000142E0: 0B81812E
	v_mul_f32_e32 v193, v46, v193                              // 0000000142E4: 0B83832E
	v_mul_f32_e32 v194, v46, v194                              // 0000000142E8: 0B85852E
	v_mul_f32_e32 v195, v46, v195                              // 0000000142EC: 0B87872E
	v_mul_f32_e32 v196, v46, v196                              // 0000000142F0: 0B89892E
	v_mul_f32_e32 v197, v46, v197                              // 0000000142F4: 0B8B8B2E
	v_mul_f32_e32 v198, v46, v198                              // 0000000142F8: 0B8D8D2E
	v_mul_f32_e32 v199, v46, v199                              // 0000000142FC: 0B8F8F2E
	s_waitcnt lgkmcnt(0)                                       // 000000014300: BF8CC07F
	v_max3_f32 v48, v64, v65, v48                              // 000000014304: D1D30030 04C28340
	v_max3_f32 v48, v66, v67, v48                              // 00000001430C: D1D30030 04C28742
	v_max3_f32 v48, v68, v69, v48                              // 000000014314: D1D30030 04C28B44
	v_max3_f32 v48, v70, v71, v48                              // 00000001431C: D1D30030 04C28F46
	v_max3_f32 v48, v72, v73, v48                              // 000000014324: D1D30030 04C29348
	v_max3_f32 v48, v74, v75, v48                              // 00000001432C: D1D30030 04C2974A
	v_max3_f32 v48, v76, v77, v48                              // 000000014334: D1D30030 04C29B4C
	v_max3_f32 v48, v78, v79, v48                              // 00000001433C: D1D30030 04C29F4E
	v_mov_b32_e32 v64, 0xff800000                              // 000000014344: 7E8002FF FF800000
	v_cmp_eq_u32_e64 s[40:41], v64, v13                        // 00000001434C: D0CA0028 00021B40
	s_nop 1                                                    // 000000014354: BF800001
	v_max_f32_e32 v15, v48, v13                                // 000000014358: 161E1B30
	v_mul_f32_e32 v53, s64, v15                                // 00000001435C: 0A6A1E40
	v_fma_f32 v144, v144, s64, -v53                            // 000000014360: D1CB0090 84D48190
	v_fma_f32 v145, v145, s64, -v53                            // 000000014368: D1CB0091 84D48191
	v_fma_f32 v146, v146, s64, -v53                            // 000000014370: D1CB0092 84D48192
	v_fma_f32 v147, v147, s64, -v53                            // 000000014378: D1CB0093 84D48193
	v_fma_f32 v148, v148, s64, -v53                            // 000000014380: D1CB0094 84D48194
	v_fma_f32 v149, v149, s64, -v53                            // 000000014388: D1CB0095 84D48195
	v_fma_f32 v150, v150, s64, -v53                            // 000000014390: D1CB0096 84D48196
	v_fma_f32 v151, v151, s64, -v53                            // 000000014398: D1CB0097 84D48197
	v_fma_f32 v152, v152, s64, -v53                            // 0000000143A0: D1CB0098 84D48198
	v_fma_f32 v153, v153, s64, -v53                            // 0000000143A8: D1CB0099 84D48199
	v_fma_f32 v154, v154, s64, -v53                            // 0000000143B0: D1CB009A 84D4819A
	v_fma_f32 v155, v155, s64, -v53                            // 0000000143B8: D1CB009B 84D4819B
	v_fma_f32 v156, v156, s64, -v53                            // 0000000143C0: D1CB009C 84D4819C
	v_fma_f32 v157, v157, s64, -v53                            // 0000000143C8: D1CB009D 84D4819D
	v_fma_f32 v158, v158, s64, -v53                            // 0000000143D0: D1CB009E 84D4819E
	v_fma_f32 v159, v159, s64, -v53                            // 0000000143D8: D1CB009F 84D4819F
	v_exp_f32_e32 v144, v144                                   // 0000000143E0: 7F204190
	v_exp_f32_e32 v145, v145                                   // 0000000143E4: 7F224191
	v_exp_f32_e32 v146, v146                                   // 0000000143E8: 7F244192
	v_exp_f32_e32 v147, v147                                   // 0000000143EC: 7F264193
	v_exp_f32_e32 v148, v148                                   // 0000000143F0: 7F284194
	v_exp_f32_e32 v149, v149                                   // 0000000143F4: 7F2A4195
	v_exp_f32_e32 v150, v150                                   // 0000000143F8: 7F2C4196
	v_exp_f32_e32 v151, v151                                   // 0000000143FC: 7F2E4197
	v_exp_f32_e32 v152, v152                                   // 000000014400: 7F304198
	v_exp_f32_e32 v153, v153                                   // 000000014404: 7F324199
	v_exp_f32_e32 v154, v154                                   // 000000014408: 7F34419A
	v_exp_f32_e32 v155, v155                                   // 00000001440C: 7F36419B
	v_exp_f32_e32 v156, v156                                   // 000000014410: 7F38419C
	v_exp_f32_e32 v157, v157                                   // 000000014414: 7F3A419D
	v_exp_f32_e32 v158, v158                                   // 000000014418: 7F3C419E
	v_exp_f32_e32 v159, v159                                   // 00000001441C: 7F3E419F
	v_mul_f32_dpp v240, v252, v144 quad_perm:[0,0,0,0] row_mask:0xf bank_mask:0xf// 000000014420: 0BE120FA FF0000FC
	v_mul_f32_dpp v241, v252, v145 quad_perm:[1,1,1,1] row_mask:0xf bank_mask:0xf// 000000014428: 0BE322FA FF0055FC
	v_mul_f32_dpp v242, v252, v146 quad_perm:[2,2,2,2] row_mask:0xf bank_mask:0xf// 000000014430: 0BE524FA FF00AAFC
	v_mul_f32_dpp v243, v252, v147 quad_perm:[3,3,3,3] row_mask:0xf bank_mask:0xf// 000000014438: 0BE726FA FF00FFFC
	v_mul_f32_dpp v244, v253, v148 quad_perm:[0,0,0,0] row_mask:0xf bank_mask:0xf// 000000014440: 0BE928FA FF0000FD
	v_mul_f32_dpp v245, v253, v149 quad_perm:[1,1,1,1] row_mask:0xf bank_mask:0xf// 000000014448: 0BEB2AFA FF0055FD
	v_mul_f32_dpp v246, v253, v150 quad_perm:[2,2,2,2] row_mask:0xf bank_mask:0xf// 000000014450: 0BED2CFA FF00AAFD
	v_mul_f32_dpp v247, v253, v151 quad_perm:[3,3,3,3] row_mask:0xf bank_mask:0xf// 000000014458: 0BEF2EFA FF00FFFD
	v_mul_f32_dpp v248, v254, v152 quad_perm:[0,0,0,0] row_mask:0xf bank_mask:0xf// 000000014460: 0BF130FA FF0000FE
	v_mul_f32_dpp v249, v254, v153 quad_perm:[1,1,1,1] row_mask:0xf bank_mask:0xf// 000000014468: 0BF332FA FF0055FE
	v_mul_f32_dpp v250, v254, v154 quad_perm:[2,2,2,2] row_mask:0xf bank_mask:0xf// 000000014470: 0BF534FA FF00AAFE
	v_mul_f32_dpp v251, v254, v155 quad_perm:[3,3,3,3] row_mask:0xf bank_mask:0xf// 000000014478: 0BF736FA FF00FFFE
	v_mul_f32_dpp v252, v255, v156 quad_perm:[0,0,0,0] row_mask:0xf bank_mask:0xf// 000000014480: 0BF938FA FF0000FF
	v_mul_f32_dpp v253, v255, v157 quad_perm:[1,1,1,1] row_mask:0xf bank_mask:0xf// 000000014488: 0BFB3AFA FF0055FF
	v_mul_f32_dpp v254, v255, v158 quad_perm:[2,2,2,2] row_mask:0xf bank_mask:0xf// 000000014490: 0BFD3CFA FF00AAFF
	v_mul_f32_dpp v255, v255, v159 quad_perm:[3,3,3,3] row_mask:0xf bank_mask:0xf// 000000014498: 0BFF3EFA FF00FFFF
	v_mov_b32_e32 v48, 0x358637bd                              // 0000000144A0: 7E6002FF 358637BD
	v_max3_f32 v48, |v240|, |v241|, v48                        // 0000000144A8: D1D30330 04C3E3F0
	v_max3_f32 v48, |v242|, |v243|, v48                        // 0000000144B0: D1D30330 04C3E7F2
	v_max3_f32 v48, |v244|, |v245|, v48                        // 0000000144B8: D1D30330 04C3EBF4
	v_max3_f32 v48, |v246|, |v247|, v48                        // 0000000144C0: D1D30330 04C3EFF6
	v_max3_f32 v48, |v248|, |v249|, v48                        // 0000000144C8: D1D30330 04C3F3F8
	v_max3_f32 v48, |v250|, |v251|, v48                        // 0000000144D0: D1D30330 04C3F7FA
	v_max3_f32 v48, |v252|, |v253|, v48                        // 0000000144D8: D1D30330 04C3FBFC
	v_max3_f32 v48, |v254|, |v255|, v48                        // 0000000144E0: D1D30330 04C3FFFE
	ds_write_b32 v8, v48 offset:20992                          // 0000000144E8: D81A5200 00003008
	v_sub_f32_e32 v51, v13, v15                                // 0000000144F0: 04661F0D
	v_cndmask_b32_e64 v51, v51, 0, s[40:41]                    // 0000000144F4: D1000033 00A10133
	v_mov_b32_e32 v13, v15                                     // 0000000144FC: 7E1A030F
	v_mul_f32_e32 v51, s64, v51                                // 000000014500: 0A666640
	v_exp_f32_e32 v51, v51                                     // 000000014504: 7E664133
	s_waitcnt lgkmcnt(0)                                       // 000000014508: BF8CC07F
	s_barrier                                                  // 00000001450C: BF8A0000
	ds_read_b32 v64, v7 offset:20992                           // 000000014510: D86C5200 40000007
	ds_read_b32 v65, v7 offset:21056                           // 000000014518: D86C5240 41000007
	ds_read_b32 v66, v7 offset:21120                           // 000000014520: D86C5280 42000007
	ds_read_b32 v67, v7 offset:21184                           // 000000014528: D86C52C0 43000007
	ds_read_b32 v68, v7 offset:21248                           // 000000014530: D86C5300 44000007
	ds_read_b32 v69, v7 offset:21312                           // 000000014538: D86C5340 45000007
	ds_read_b32 v70, v7 offset:21376                           // 000000014540: D86C5380 46000007
	ds_read_b32 v71, v7 offset:21440                           // 000000014548: D86C53C0 47000007
	ds_read_b32 v72, v7 offset:21504                           // 000000014550: D86C5400 48000007
	ds_read_b32 v73, v7 offset:21568                           // 000000014558: D86C5440 49000007
	ds_read_b32 v74, v7 offset:21632                           // 000000014560: D86C5480 4A000007
	ds_read_b32 v75, v7 offset:21696                           // 000000014568: D86C54C0 4B000007
	ds_read_b32 v76, v7 offset:21760                           // 000000014570: D86C5500 4C000007
	ds_read_b32 v77, v7 offset:21824                           // 000000014578: D86C5540 4D000007
	ds_read_b32 v78, v7 offset:21888                           // 000000014580: D86C5580 4E000007
	ds_read_b32 v79, v7 offset:21952                           // 000000014588: D86C55C0 4F000007
	v_mul_f32_e32 v40, v51, v40                                // 000000014590: 0A505133
	v_mov_b32_e32 v15, v144                                    // 000000014594: 7E1E0390
	v_add_f32_e32 v15, v145, v15                               // 000000014598: 021E1F91
	v_add_f32_e32 v15, v146, v15                               // 00000001459C: 021E1F92
	v_add_f32_e32 v15, v147, v15                               // 0000000145A0: 021E1F93
	v_add_f32_e32 v15, v148, v15                               // 0000000145A4: 021E1F94
	v_add_f32_e32 v15, v149, v15                               // 0000000145A8: 021E1F95
	v_add_f32_e32 v15, v150, v15                               // 0000000145AC: 021E1F96
	v_add_f32_e32 v15, v151, v15                               // 0000000145B0: 021E1F97
	v_add_f32_e32 v15, v152, v15                               // 0000000145B4: 021E1F98
	v_add_f32_e32 v15, v153, v15                               // 0000000145B8: 021E1F99
	v_add_f32_e32 v15, v154, v15                               // 0000000145BC: 021E1F9A
	v_add_f32_e32 v15, v155, v15                               // 0000000145C0: 021E1F9B
	v_add_f32_e32 v15, v156, v15                               // 0000000145C4: 021E1F9C
	v_add_f32_e32 v15, v157, v15                               // 0000000145C8: 021E1F9D
	v_add_f32_e32 v15, v158, v15                               // 0000000145CC: 021E1F9E
	v_add_f32_e32 v15, v159, v15                               // 0000000145D0: 021E1F9F
	v_add_f32_e32 v40, v15, v40                                // 0000000145D4: 0250510F
	s_waitcnt lgkmcnt(0)                                       // 0000000145D8: BF8CC07F
	v_max3_f32 v48, |v64|, |v65|, v48                          // 0000000145DC: D1D30330 04C28340
	v_max3_f32 v48, |v66|, |v67|, v48                          // 0000000145E4: D1D30330 04C28742
	v_max3_f32 v48, |v68|, |v69|, v48                          // 0000000145EC: D1D30330 04C28B44
	v_max3_f32 v48, |v70|, |v71|, v48                          // 0000000145F4: D1D30330 04C28F46
	v_max3_f32 v48, |v72|, |v73|, v48                          // 0000000145FC: D1D30330 04C29348
	v_max3_f32 v48, |v74|, |v75|, v48                          // 000000014604: D1D30330 04C2974A
	v_max3_f32 v48, |v76|, |v77|, v48                          // 00000001460C: D1D30330 04C29B4C
	v_max3_f32 v48, |v78|, |v79|, v48                          // 000000014614: D1D30330 04C29F4E
	s_nop 2                                                    // 00000001461C: BF800002
	v_rcp_f32_e32 v48, v48                                     // 000000014620: 7E604530
	s_nop 1                                                    // 000000014624: BF800001
	v_mul_f32_e32 v48, 0x42fe0000, v48                         // 000000014628: 0A6060FF 42FE0000
	v_mul_f32_e32 v144, v48, v240                              // 000000014630: 0B21E130
	v_mul_f32_e32 v145, v48, v241                              // 000000014634: 0B23E330
	v_mul_f32_e32 v146, v48, v242                              // 000000014638: 0B25E530
	v_mul_f32_e32 v147, v48, v243                              // 00000001463C: 0B27E730
	v_mul_f32_e32 v148, v48, v244                              // 000000014640: 0B29E930
	v_mul_f32_e32 v149, v48, v245                              // 000000014644: 0B2BEB30
	v_mul_f32_e32 v150, v48, v246                              // 000000014648: 0B2DED30
	v_mul_f32_e32 v151, v48, v247                              // 00000001464C: 0B2FEF30
	v_mul_f32_e32 v152, v48, v248                              // 000000014650: 0B31F130
	v_mul_f32_e32 v153, v48, v249                              // 000000014654: 0B33F330
	v_mul_f32_e32 v154, v48, v250                              // 000000014658: 0B35F530
	v_mul_f32_e32 v155, v48, v251                              // 00000001465C: 0B37F730
	v_mul_f32_e32 v156, v48, v252                              // 000000014660: 0B39F930
	v_mul_f32_e32 v157, v48, v253                              // 000000014664: 0B3BFB30
	v_mul_f32_e32 v158, v48, v254                              // 000000014668: 0B3DFD30
	v_mul_f32_e32 v159, v48, v255                              // 00000001466C: 0B3FFF30
	v_cvt_i32_f32_e32 v144, v144                               // 000000014670: 7F201190
	v_cvt_i32_f32_e32 v145, v145                               // 000000014674: 7F221191
	v_cvt_i32_f32_e32 v146, v146                               // 000000014678: 7F241192
	v_cvt_i32_f32_e32 v147, v147                               // 00000001467C: 7F261193
	v_cvt_i32_f32_e32 v148, v148                               // 000000014680: 7F281194
	v_cvt_i32_f32_e32 v149, v149                               // 000000014684: 7F2A1195
	v_cvt_i32_f32_e32 v150, v150                               // 000000014688: 7F2C1196
	v_cvt_i32_f32_e32 v151, v151                               // 00000001468C: 7F2E1197
	v_cvt_i32_f32_e32 v152, v152                               // 000000014690: 7F301198
	v_cvt_i32_f32_e32 v153, v153                               // 000000014694: 7F321199
	v_cvt_i32_f32_e32 v154, v154                               // 000000014698: 7F34119A
	v_cvt_i32_f32_e32 v155, v155                               // 00000001469C: 7F36119B
	v_cvt_i32_f32_e32 v156, v156                               // 0000000146A0: 7F38119C
	v_cvt_i32_f32_e32 v157, v157                               // 0000000146A4: 7F3A119D
	v_cvt_i32_f32_e32 v158, v158                               // 0000000146A8: 7F3C119E
	v_cvt_i32_f32_e32 v159, v159                               // 0000000146AC: 7F3E119F
	v_perm_b32 v144, v145, v144, s53                           // 0000000146B0: D1ED0090 00D72191
	v_perm_b32 v144, v146, v144, s54                           // 0000000146B8: D1ED0090 00DB2192
	v_perm_b32 v144, v147, v144, s55                           // 0000000146C0: D1ED0090 00DF2193
	v_perm_b32 v145, v149, v148, s53                           // 0000000146C8: D1ED0091 00D72995
	v_perm_b32 v145, v150, v145, s54                           // 0000000146D0: D1ED0091 00DB2396
	v_perm_b32 v145, v151, v145, s55                           // 0000000146D8: D1ED0091 00DF2397
	v_perm_b32 v146, v153, v152, s53                           // 0000000146E0: D1ED0092 00D73199
	v_perm_b32 v146, v154, v146, s54                           // 0000000146E8: D1ED0092 00DB259A
	v_perm_b32 v146, v155, v146, s55                           // 0000000146F0: D1ED0092 00DF259B
	v_perm_b32 v147, v157, v156, s53                           // 0000000146F8: D1ED0093 00D7399D
	v_perm_b32 v147, v158, v147, s54                           // 000000014700: D1ED0093 00DB279E
	v_perm_b32 v147, v159, v147, s55                           // 000000014708: D1ED0093 00DF279F
	ds_write_b32 v10, v144 offset:33280                        // 000000014710: D81A8200 0000900A
	ds_write_b32 v10, v145 offset:34304                        // 000000014718: D81A8600 0000910A
	ds_write_b32 v10, v146 offset:35328                        // 000000014720: D81A8A00 0000920A
	ds_write_b32 v10, v147 offset:36352                        // 000000014728: D81A8E00 0000930A
	v_add_f32_e32 v224, v224, v192                             // 000000014730: 03C181E0
	v_add_f32_e32 v225, v225, v193                             // 000000014734: 03C383E1
	v_add_f32_e32 v226, v226, v194                             // 000000014738: 03C585E2
	v_add_f32_e32 v227, v227, v195                             // 00000001473C: 03C787E3
	v_add_f32_e32 v228, v228, v196                             // 000000014740: 03C989E4
	v_add_f32_e32 v229, v229, v197                             // 000000014744: 03CB8BE5
	v_add_f32_e32 v230, v230, v198                             // 000000014748: 03CD8DE6
	v_add_f32_e32 v231, v231, v199                             // 00000001474C: 03CF8FE7
	v_rcp_f32_e32 v46, v48                                     // 000000014750: 7E5C4530
	s_waitcnt lgkmcnt(0)                                       // 000000014754: BF8CC07F
	s_barrier                                                  // 000000014758: BF8A0000
	ds_read_b64 v[144:145], v9 offset:33280                    // 00000001475C: D8EC8200 90000009
	ds_read_b64 v[146:147], v9 offset:33408                    // 000000014764: D8EC8280 92000009
	ds_read_b64 v[148:149], v9 offset:34304                    // 00000001476C: D8EC8600 94000009
	ds_read_b64 v[150:151], v9 offset:34432                    // 000000014774: D8EC8680 96000009
	ds_read_b64 v[152:153], v9 offset:35328                    // 00000001477C: D8EC8A00 98000009
	ds_read_b64 v[154:155], v9 offset:35456                    // 000000014784: D8EC8A80 9A000009
	ds_read_b64 v[156:157], v9 offset:36352                    // 00000001478C: D8EC8E00 9C000009
	ds_read_b64 v[158:159], v9 offset:36480                    // 000000014794: D8EC8E80 9E000009
	s_waitcnt vmcnt(15)                                        // 00000001479C: BF8C0F7F
	v_mfma_i32_16x16x32_i8 v[176:179], a[64:65], v[112:113], 0 // 0000000147A0: D3D700B0 0A02E140
	buffer_load_dwordx4 a[112:115], v34, s[20:23], 0 offen offset:1024// 0000000147A8: E05C1400 80857022
	v_mfma_i32_16x16x32_i8 v[176:179], a[66:67], v[114:115], v[176:179]// 0000000147B0: D3D700B0 0EC2E542
	v_mfma_i32_16x16x32_i8 v[176:179], a[68:69], v[116:117], v[176:179]// 0000000147B8: D3D700B0 0EC2E944
	v_mfma_i32_16x16x32_i8 v[176:179], a[70:71], v[118:119], v[176:179]// 0000000147C0: D3D700B0 0EC2ED46
	v_mfma_i32_16x16x32_i8 v[176:179], a[72:73], v[120:121], v[176:179]// 0000000147C8: D3D700B0 0EC2F148
	buffer_load_dwordx4 a[116:119], v35, s[20:23], 0 offen offset:1024// 0000000147D0: E05C1400 80857423
	v_mfma_i32_16x16x32_i8 v[176:179], a[74:75], v[122:123], v[176:179]// 0000000147D8: D3D700B0 0EC2F54A
	v_mfma_i32_16x16x32_i8 v[176:179], a[76:77], v[124:125], v[176:179]// 0000000147E0: D3D700B0 0EC2F94C
	v_mfma_i32_16x16x32_i8 v[176:179], a[78:79], v[126:127], v[176:179]// 0000000147E8: D3D700B0 0EC2FD4E
	v_mfma_i32_16x16x32_i8 v[180:183], a[80:81], v[112:113], 0 // 0000000147F0: D3D700B4 0A02E150
	buffer_load_dwordx4 a[120:123], v36, s[20:23], 0 offen offset:1024// 0000000147F8: E05C1400 80857824
	v_mfma_i32_16x16x32_i8 v[180:183], a[82:83], v[114:115], v[180:183]// 000000014800: D3D700B4 0ED2E552
	v_mfma_i32_16x16x32_i8 v[180:183], a[84:85], v[116:117], v[180:183]// 000000014808: D3D700B4 0ED2E954
	v_mfma_i32_16x16x32_i8 v[180:183], a[86:87], v[118:119], v[180:183]// 000000014810: D3D700B4 0ED2ED56
	v_mfma_i32_16x16x32_i8 v[180:183], a[88:89], v[120:121], v[180:183]// 000000014818: D3D700B4 0ED2F158
	buffer_load_dwordx4 a[124:127], v37, s[20:23], 0 offen offset:1024// 000000014820: E05C1400 80857C25
	v_mfma_i32_16x16x32_i8 v[180:183], a[90:91], v[122:123], v[180:183]// 000000014828: D3D700B4 0ED2F55A
	v_mfma_i32_16x16x32_i8 v[180:183], a[92:93], v[124:125], v[180:183]// 000000014830: D3D700B4 0ED2F95C
	s_lshr_b32 s57, s70, 4                                     // 000000014838: 8F398446
	s_add_u32 s57, 48, s57                                     // 00000001483C: 803939B0
	v_mfma_i32_16x16x32_i8 v[180:183], a[94:95], v[126:127], v[180:183]// 000000014840: D3D700B4 0ED2FD5E
	s_cmp_ge_u32 s57, s73                                      // 000000014848: BF094939
	s_cselect_b32 s56, 0, s56                                  // 00000001484C: 85383880
	v_mfma_i32_16x16x32_i8 v[184:187], a[64:65], v[128:129], 0 // 000000014850: D3D700B8 0A030140
	v_mfma_i32_16x16x32_i8 v[184:187], a[66:67], v[130:131], v[184:187]// 000000014858: D3D700B8 0EE30542
	v_mfma_i32_16x16x32_i8 v[184:187], a[68:69], v[132:133], v[184:187]// 000000014860: D3D700B8 0EE30944
	v_mfma_i32_16x16x32_i8 v[184:187], a[70:71], v[134:135], v[184:187]// 000000014868: D3D700B8 0EE30D46
	v_mfma_i32_16x16x32_i8 v[184:187], a[72:73], v[136:137], v[184:187]// 000000014870: D3D700B8 0EE31148
	v_mfma_i32_16x16x32_i8 v[184:187], a[74:75], v[138:139], v[184:187]// 000000014878: D3D700B8 0EE3154A
	v_mfma_i32_16x16x32_i8 v[184:187], a[76:77], v[140:141], v[184:187]// 000000014880: D3D700B8 0EE3194C
	v_mfma_i32_16x16x32_i8 v[184:187], a[78:79], v[142:143], v[184:187]// 000000014888: D3D700B8 0EE31D4E
	v_mfma_i32_16x16x32_i8 v[188:191], a[80:81], v[128:129], 0 // 000000014890: D3D700BC 0A030150
	v_mfma_i32_16x16x32_i8 v[188:191], a[82:83], v[130:131], v[188:191]// 000000014898: D3D700BC 0EF30552
	v_mfma_i32_16x16x32_i8 v[188:191], a[84:85], v[132:133], v[188:191]// 0000000148A0: D3D700BC 0EF30954
	v_mfma_i32_16x16x32_i8 v[188:191], a[86:87], v[134:135], v[188:191]// 0000000148A8: D3D700BC 0EF30D56
	v_mfma_i32_16x16x32_i8 v[188:191], a[88:89], v[136:137], v[188:191]// 0000000148B0: D3D700BC 0EF31158
	v_mfma_i32_16x16x32_i8 v[188:191], a[90:91], v[138:139], v[188:191]// 0000000148B8: D3D700BC 0EF3155A
	v_mfma_i32_16x16x32_i8 v[188:191], a[92:93], v[140:141], v[188:191]// 0000000148C0: D3D700BC 0EF3195C
	v_mfma_i32_16x16x32_i8 v[188:191], a[94:95], v[142:143], v[188:191]// 0000000148C8: D3D700BC 0EF31D5E
	v_mfma_i32_16x16x32_i8 v[192:195], a[64:65], v[144:145], 0 // 0000000148D0: D3D700C0 0A032140
	v_mfma_i32_16x16x32_i8 v[192:195], a[66:67], v[146:147], v[192:195]// 0000000148D8: D3D700C0 0F032542
	v_mfma_i32_16x16x32_i8 v[192:195], a[68:69], v[148:149], v[192:195]// 0000000148E0: D3D700C0 0F032944
	v_mfma_i32_16x16x32_i8 v[192:195], a[70:71], v[150:151], v[192:195]// 0000000148E8: D3D700C0 0F032D46
	v_mfma_i32_16x16x32_i8 v[192:195], a[72:73], v[152:153], v[192:195]// 0000000148F0: D3D700C0 0F033148
	v_mfma_i32_16x16x32_i8 v[192:195], a[74:75], v[154:155], v[192:195]// 0000000148F8: D3D700C0 0F03354A
	v_mfma_i32_16x16x32_i8 v[192:195], a[76:77], v[156:157], v[192:195]// 000000014900: D3D700C0 0F03394C
	v_mfma_i32_16x16x32_i8 v[192:195], a[78:79], v[158:159], v[192:195]// 000000014908: D3D700C0 0F033D4E
	v_mfma_i32_16x16x32_i8 v[196:199], a[80:81], v[144:145], 0 // 000000014910: D3D700C4 0A032150
	v_mfma_i32_16x16x32_i8 v[196:199], a[82:83], v[146:147], v[196:199]// 000000014918: D3D700C4 0F132552
	v_mfma_i32_16x16x32_i8 v[196:199], a[84:85], v[148:149], v[196:199]// 000000014920: D3D700C4 0F132954
	v_mfma_i32_16x16x32_i8 v[196:199], a[86:87], v[150:151], v[196:199]// 000000014928: D3D700C4 0F132D56
	v_mfma_i32_16x16x32_i8 v[196:199], a[88:89], v[152:153], v[196:199]// 000000014930: D3D700C4 0F133158
	v_mfma_i32_16x16x32_i8 v[196:199], a[90:91], v[154:155], v[196:199]// 000000014938: D3D700C4 0F13355A
	v_mfma_i32_16x16x32_i8 v[196:199], a[92:93], v[156:157], v[196:199]// 000000014940: D3D700C4 0F13395C
	v_mfma_i32_16x16x32_i8 v[196:199], a[94:95], v[158:159], v[196:199]// 000000014948: D3D700C4 0F133D5E
	v_add_u32_e32 v1, s56, v1                                  // 000000014950: 68020238
	s_addk_i32 s70, 0x100                                      // 000000014954: B7460100
	s_cmp_lt_i32 s70, s71                                      // 000000014958: BF044746
	s_cbranch_scc0 label_430F                                  // 00000001495C: BF84F937
	s_waitcnt vmcnt(8) lgkmcnt(0)                              // 000000014960: BF8C0078
	v_mul_u32_u24_dpp v64, v16, v54 row_newbcast:0 row_mask:0xf bank_mask:0xf// 000000014964: 10806CFA FF015010
	v_mul_u32_u24_dpp v65, v16, v54 row_newbcast:4 row_mask:0xf bank_mask:0xf// 00000001496C: 10826CFA FF015410
	v_mul_u32_u24_dpp v66, v16, v54 row_newbcast:8 row_mask:0xf bank_mask:0xf// 000000014974: 10846CFA FF015810
	v_mul_u32_u24_dpp v67, v16, v54 row_newbcast:12 row_mask:0xf bank_mask:0xf// 00000001497C: 10866CFA FF015C10
	v_add_u32_e32 v22, v64, v5                                 // 000000014984: 682C0B40
	v_add_u32_e32 v23, v65, v5                                 // 000000014988: 682E0B41
	v_add_u32_e32 v24, v66, v5                                 // 00000001498C: 68300B42
	v_add_u32_e32 v25, v67, v5                                 // 000000014990: 68320B43
	v_mul_u32_u24_dpp v64, v16, v63 quad_perm:[0,0,0,0] row_mask:0xf bank_mask:0xf// 000000014994: 10807EFA FF000010
	v_add_u32_e32 v2, v64, v59                                 // 00000001499C: 68047740
	v_mul_u32_u24_dpp v64, v16, v63 quad_perm:[0,0,0,0] row_mask:0xf bank_mask:0xf// 0000000149A0: 10807EFA FF000010
	v_add_u32_e32 v55, v64, v60                                // 0000000149A8: 686E7940
	v_mfma_i32_16x16x32_i8 v[112:115], a[32:33], v[80:81], 0   // 0000000149AC: D3D70070 0A02A120
	buffer_load_dwordx4 a[0:3], v22, s[16:19], 0 offen         // 0000000149B4: E05C1000 80840016
	v_mfma_i32_16x16x32_i8 v[112:115], a[34:35], v[82:83], v[112:115]// 0000000149BC: D3D70070 0DC2A522
	v_mfma_i32_16x16x32_i8 v[112:115], a[36:37], v[84:85], v[112:115]// 0000000149C4: D3D70070 0DC2A924
	buffer_load_dword v17, v1, s[24:27], 0 offen               // 0000000149CC: E0501000 80061101
	v_mfma_i32_16x16x32_i8 v[112:115], a[38:39], v[86:87], v[112:115]// 0000000149D4: D3D70070 0DC2AD26
	v_mfma_i32_16x16x32_i8 v[116:119], a[40:41], v[80:81], 0   // 0000000149DC: D3D70074 0A02A128
	buffer_load_dwordx4 a[4:7], v22, s[16:19], 0 offen offset:1024// 0000000149E4: E05C1400 80840416
	v_mfma_i32_16x16x32_i8 v[116:119], a[42:43], v[82:83], v[116:119]// 0000000149EC: D3D70074 0DD2A52A
	v_mfma_i32_16x16x32_i8 v[116:119], a[44:45], v[84:85], v[116:119]// 0000000149F4: D3D70074 0DD2A92C
	v_mfma_i32_16x16x32_i8 v[116:119], a[46:47], v[86:87], v[116:119]// 0000000149FC: D3D70074 0DD2AD2E
	v_mfma_i32_16x16x32_i8 v[120:123], a[48:49], v[80:81], 0   // 000000014A04: D3D70078 0A02A130
	buffer_load_dwordx4 a[8:11], v23, s[16:19], 0 offen        // 000000014A0C: E05C1000 80840817
	v_mfma_i32_16x16x32_i8 v[120:123], a[50:51], v[82:83], v[120:123]// 000000014A14: D3D70078 0DE2A532
	v_mfma_i32_16x16x32_i8 v[120:123], a[52:53], v[84:85], v[120:123]// 000000014A1C: D3D70078 0DE2A934
	v_mfma_i32_16x16x32_i8 v[120:123], a[54:55], v[86:87], v[120:123]// 000000014A24: D3D70078 0DE2AD36
	v_mfma_i32_16x16x32_i8 v[124:127], a[56:57], v[80:81], 0   // 000000014A2C: D3D7007C 0A02A138
	buffer_load_dwordx4 a[12:15], v23, s[16:19], 0 offen offset:1024// 000000014A34: E05C1400 80840C17
	v_mfma_i32_16x16x32_i8 v[124:127], a[58:59], v[82:83], v[124:127]// 000000014A3C: D3D7007C 0DF2A53A
	v_mfma_i32_16x16x32_i8 v[124:127], a[60:61], v[84:85], v[124:127]// 000000014A44: D3D7007C 0DF2A93C
	v_mfma_i32_16x16x32_i8 v[124:127], a[62:63], v[86:87], v[124:127]// 000000014A4C: D3D7007C 0DF2AD3E
	v_mfma_i32_16x16x32_i8 v[128:131], a[32:33], v[88:89], 0   // 000000014A54: D3D70080 0A02B120
	v_mfma_i32_16x16x32_i8 v[128:131], a[34:35], v[90:91], v[128:131]// 000000014A5C: D3D70080 0E02B522
	v_mfma_i32_16x16x32_i8 v[128:131], a[36:37], v[92:93], v[128:131]// 000000014A64: D3D70080 0E02B924
	v_mfma_i32_16x16x32_i8 v[128:131], a[38:39], v[94:95], v[128:131]// 000000014A6C: D3D70080 0E02BD26
	v_mfma_i32_16x16x32_i8 v[132:135], a[40:41], v[88:89], 0   // 000000014A74: D3D70084 0A02B128
	v_mfma_i32_16x16x32_i8 v[132:135], a[42:43], v[90:91], v[132:135]// 000000014A7C: D3D70084 0E12B52A
	v_mfma_i32_16x16x32_i8 v[132:135], a[44:45], v[92:93], v[132:135]// 000000014A84: D3D70084 0E12B92C
	v_mfma_i32_16x16x32_i8 v[132:135], a[46:47], v[94:95], v[132:135]// 000000014A8C: D3D70084 0E12BD2E
	v_mfma_i32_16x16x32_i8 v[136:139], a[48:49], v[88:89], 0   // 000000014A94: D3D70088 0A02B130
	v_mfma_i32_16x16x32_i8 v[136:139], a[50:51], v[90:91], v[136:139]// 000000014A9C: D3D70088 0E22B532
	v_mfma_i32_16x16x32_i8 v[136:139], a[52:53], v[92:93], v[136:139]// 000000014AA4: D3D70088 0E22B934
	v_mfma_i32_16x16x32_i8 v[136:139], a[54:55], v[94:95], v[136:139]// 000000014AAC: D3D70088 0E22BD36
	v_mfma_i32_16x16x32_i8 v[140:143], a[56:57], v[88:89], 0   // 000000014AB4: D3D7008C 0A02B138
	v_mfma_i32_16x16x32_i8 v[140:143], a[58:59], v[90:91], v[140:143]// 000000014ABC: D3D7008C 0E32B53A
	v_mfma_i32_16x16x32_i8 v[140:143], a[60:61], v[92:93], v[140:143]// 000000014AC4: D3D7008C 0E32B93C
	v_mfma_i32_16x16x32_i8 v[140:143], a[62:63], v[94:95], v[140:143]// 000000014ACC: D3D7008C 0E32BD3E
	v_mfma_i32_16x16x32_i8 v[144:147], a[32:33], v[96:97], 0   // 000000014AD4: D3D70090 0A02C120
	v_mfma_i32_16x16x32_i8 v[144:147], a[34:35], v[98:99], v[144:147]// 000000014ADC: D3D70090 0E42C522
	v_mfma_i32_16x16x32_i8 v[144:147], a[36:37], v[100:101], v[144:147]// 000000014AE4: D3D70090 0E42C924
	v_mfma_i32_16x16x32_i8 v[144:147], a[38:39], v[102:103], v[144:147]// 000000014AEC: D3D70090 0E42CD26
	v_mfma_i32_16x16x32_i8 v[148:151], a[40:41], v[96:97], 0   // 000000014AF4: D3D70094 0A02C128
	v_mfma_i32_16x16x32_i8 v[148:151], a[42:43], v[98:99], v[148:151]// 000000014AFC: D3D70094 0E52C52A
	v_mfma_i32_16x16x32_i8 v[148:151], a[44:45], v[100:101], v[148:151]// 000000014B04: D3D70094 0E52C92C
	v_mfma_i32_16x16x32_i8 v[148:151], a[46:47], v[102:103], v[148:151]// 000000014B0C: D3D70094 0E52CD2E
	v_mfma_i32_16x16x32_i8 v[152:155], a[48:49], v[96:97], 0   // 000000014B14: D3D70098 0A02C130
	v_mfma_i32_16x16x32_i8 v[152:155], a[50:51], v[98:99], v[152:155]// 000000014B1C: D3D70098 0E62C532
	v_mfma_i32_16x16x32_i8 v[152:155], a[52:53], v[100:101], v[152:155]// 000000014B24: D3D70098 0E62C934
	v_mfma_i32_16x16x32_i8 v[152:155], a[54:55], v[102:103], v[152:155]// 000000014B2C: D3D70098 0E62CD36
	v_mfma_i32_16x16x32_i8 v[156:159], a[56:57], v[96:97], 0   // 000000014B34: D3D7009C 0A02C138
	v_mfma_i32_16x16x32_i8 v[156:159], a[58:59], v[98:99], v[156:159]// 000000014B3C: D3D7009C 0E72C53A
	v_mfma_i32_16x16x32_i8 v[156:159], a[60:61], v[100:101], v[156:159]// 000000014B44: D3D7009C 0E72C93C
	v_mfma_i32_16x16x32_i8 v[156:159], a[62:63], v[102:103], v[156:159]// 000000014B4C: D3D7009C 0E72CD3E
	buffer_load_dword v42, v2, s[32:35], 0 offen               // 000000014B54: E0501000 80082A02
	v_mov_b32_dpp v64, v43 row_shr:4 row_mask:0xf bank_mask:0xf// 000000014B5C: 7E8002FA FF01142B
	v_mov_b32_dpp v65, v43 row_shl:4 row_mask:0xf bank_mask:0xf// 000000014B64: 7E8202FA FF01042B
	v_cndmask_b32_e64 v248, v43, v64, s[44:45]                 // 000000014B6C: D10000F8 00B2812B
	v_cndmask_b32_e64 v249, v65, v43, s[44:45]                 // 000000014B74: D10000F9 00B25741
	v_mov_b32_dpp v64, v248 row_shr:8 row_mask:0xf bank_mask:0xf// 000000014B7C: 7E8002FA FF0118F8
	v_mov_b32_dpp v65, v248 row_shl:8 row_mask:0xf bank_mask:0xf// 000000014B84: 7E8202FA FF0108F8
	v_mov_b32_dpp v66, v249 row_shr:8 row_mask:0xf bank_mask:0xf// 000000014B8C: 7E8402FA FF0118F9
	v_mov_b32_dpp v67, v249 row_shl:8 row_mask:0xf bank_mask:0xf// 000000014B94: 7E8602FA FF0108F9
	v_mov_b32_e32 v68, v248                                    // 000000014B9C: 7E8803F8
	v_mov_b32_e32 v69, v249                                    // 000000014BA0: 7E8A03F9
	v_cndmask_b32_e64 v248, v68, v64, s[42:43]                 // 000000014BA4: D10000F8 00AA8144
	v_cndmask_b32_e64 v250, v68, v65, s[78:79]                 // 000000014BAC: D10000FA 013A8344
	v_cndmask_b32_e64 v249, v69, v66, s[42:43]                 // 000000014BB4: D10000F9 00AA8545
	v_cndmask_b32_e64 v251, v69, v67, s[78:79]                 // 000000014BBC: D10000FB 013A8745
	v_mov_b32_dpp v64, v58 row_shr:4 row_mask:0xf bank_mask:0xf// 000000014BC4: 7E8002FA FF01143A
	v_mov_b32_dpp v65, v58 row_shl:4 row_mask:0xf bank_mask:0xf// 000000014BCC: 7E8202FA FF01043A
	v_cndmask_b32_e64 v252, v58, v64, s[44:45]                 // 000000014BD4: D10000FC 00B2813A
	v_cndmask_b32_e64 v253, v65, v58, s[44:45]                 // 000000014BDC: D10000FD 00B27541
	v_mov_b32_dpp v64, v252 row_shr:8 row_mask:0xf bank_mask:0xf// 000000014BE4: 7E8002FA FF0118FC
	v_mov_b32_dpp v65, v252 row_shl:8 row_mask:0xf bank_mask:0xf// 000000014BEC: 7E8202FA FF0108FC
	v_mov_b32_dpp v66, v253 row_shr:8 row_mask:0xf bank_mask:0xf// 000000014BF4: 7E8402FA FF0118FD
	v_mov_b32_dpp v67, v253 row_shl:8 row_mask:0xf bank_mask:0xf// 000000014BFC: 7E8602FA FF0108FD
	v_mov_b32_e32 v68, v252                                    // 000000014C04: 7E8803FC
	v_mov_b32_e32 v69, v253                                    // 000000014C08: 7E8A03FD
	v_cndmask_b32_e64 v252, v68, v64, s[42:43]                 // 000000014C0C: D10000FC 00AA8144
	v_cndmask_b32_e64 v254, v68, v65, s[78:79]                 // 000000014C14: D10000FE 013A8344
	v_cndmask_b32_e64 v253, v69, v66, s[42:43]                 // 000000014C1C: D10000FD 00AA8545
	v_cndmask_b32_e64 v255, v69, v67, s[78:79]                 // 000000014C24: D10000FF 013A8745
	buffer_load_dword v57, v55, s[36:39], 0 offen              // 000000014C2C: E0501000 80093937
	v_cvt_f32_i32_e32 v112, v112                               // 000000014C34: 7EE00B70
	v_cvt_f32_i32_e32 v113, v113                               // 000000014C38: 7EE20B71
	v_cvt_f32_i32_e32 v114, v114                               // 000000014C3C: 7EE40B72
	v_cvt_f32_i32_e32 v115, v115                               // 000000014C40: 7EE60B73
	v_cvt_f32_i32_e32 v116, v116                               // 000000014C44: 7EE80B74
	v_cvt_f32_i32_e32 v117, v117                               // 000000014C48: 7EEA0B75
	v_cvt_f32_i32_e32 v118, v118                               // 000000014C4C: 7EEC0B76
	v_cvt_f32_i32_e32 v119, v119                               // 000000014C50: 7EEE0B77
	v_cvt_f32_i32_e32 v120, v120                               // 000000014C54: 7EF00B78
	v_cvt_f32_i32_e32 v121, v121                               // 000000014C58: 7EF20B79
	v_cvt_f32_i32_e32 v122, v122                               // 000000014C5C: 7EF40B7A
	v_cvt_f32_i32_e32 v123, v123                               // 000000014C60: 7EF60B7B
	v_cvt_f32_i32_e32 v124, v124                               // 000000014C64: 7EF80B7C
	v_cvt_f32_i32_e32 v125, v125                               // 000000014C68: 7EFA0B7D
	v_cvt_f32_i32_e32 v126, v126                               // 000000014C6C: 7EFC0B7E
	v_cvt_f32_i32_e32 v127, v127                               // 000000014C70: 7EFE0B7F
	v_mul_f32_e32 v112, v18, v112                              // 000000014C74: 0AE0E112
	v_mul_f32_e32 v113, v18, v113                              // 000000014C78: 0AE2E312
	v_mul_f32_e32 v114, v18, v114                              // 000000014C7C: 0AE4E512
	v_mul_f32_e32 v115, v18, v115                              // 000000014C80: 0AE6E712
	v_mul_f32_e32 v116, v18, v116                              // 000000014C84: 0AE8E912
	v_mul_f32_e32 v117, v18, v117                              // 000000014C88: 0AEAEB12
	v_mul_f32_e32 v118, v18, v118                              // 000000014C8C: 0AECED12
	v_mul_f32_e32 v119, v18, v119                              // 000000014C90: 0AEEEF12
	v_mul_f32_e32 v120, v18, v120                              // 000000014C94: 0AF0F112
	v_mul_f32_e32 v121, v18, v121                              // 000000014C98: 0AF2F312
	v_mul_f32_e32 v122, v18, v122                              // 000000014C9C: 0AF4F512
	v_mul_f32_e32 v123, v18, v123                              // 000000014CA0: 0AF6F712
	v_mul_f32_e32 v124, v18, v124                              // 000000014CA4: 0AF8F912
	v_mul_f32_e32 v125, v18, v125                              // 000000014CA8: 0AFAFB12
	v_mul_f32_e32 v126, v18, v126                              // 000000014CAC: 0AFCFD12
	v_mul_f32_e32 v127, v18, v127                              // 000000014CB0: 0AFEFF12
	buffer_load_dwordx4 a[16:19], v24, s[16:19], 0 offen       // 000000014CB4: E05C1000 80841018
	v_mul_f32_dpp v112, v248, v112 quad_perm:[0,0,0,0] row_mask:0xf bank_mask:0xf// 000000014CBC: 0AE0E0FA FF0000F8
	v_mul_f32_dpp v113, v248, v113 quad_perm:[1,1,1,1] row_mask:0xf bank_mask:0xf// 000000014CC4: 0AE2E2FA FF0055F8
	v_mul_f32_dpp v114, v248, v114 quad_perm:[2,2,2,2] row_mask:0xf bank_mask:0xf// 000000014CCC: 0AE4E4FA FF00AAF8
	v_mul_f32_dpp v115, v248, v115 quad_perm:[3,3,3,3] row_mask:0xf bank_mask:0xf// 000000014CD4: 0AE6E6FA FF00FFF8
	v_mul_f32_dpp v116, v249, v116 quad_perm:[0,0,0,0] row_mask:0xf bank_mask:0xf// 000000014CDC: 0AE8E8FA FF0000F9
	v_mul_f32_dpp v117, v249, v117 quad_perm:[1,1,1,1] row_mask:0xf bank_mask:0xf// 000000014CE4: 0AEAEAFA FF0055F9
	v_mul_f32_dpp v118, v249, v118 quad_perm:[2,2,2,2] row_mask:0xf bank_mask:0xf// 000000014CEC: 0AECECFA FF00AAF9
	v_mul_f32_dpp v119, v249, v119 quad_perm:[3,3,3,3] row_mask:0xf bank_mask:0xf// 000000014CF4: 0AEEEEFA FF00FFF9
	v_mul_f32_dpp v120, v250, v120 quad_perm:[0,0,0,0] row_mask:0xf bank_mask:0xf// 000000014CFC: 0AF0F0FA FF0000FA
	v_mul_f32_dpp v121, v250, v121 quad_perm:[1,1,1,1] row_mask:0xf bank_mask:0xf// 000000014D04: 0AF2F2FA FF0055FA
	v_mul_f32_dpp v122, v250, v122 quad_perm:[2,2,2,2] row_mask:0xf bank_mask:0xf// 000000014D0C: 0AF4F4FA FF00AAFA
	v_mul_f32_dpp v123, v250, v123 quad_perm:[3,3,3,3] row_mask:0xf bank_mask:0xf// 000000014D14: 0AF6F6FA FF00FFFA
	v_mul_f32_dpp v124, v251, v124 quad_perm:[0,0,0,0] row_mask:0xf bank_mask:0xf// 000000014D1C: 0AF8F8FA FF0000FB
	v_mul_f32_dpp v125, v251, v125 quad_perm:[1,1,1,1] row_mask:0xf bank_mask:0xf// 000000014D24: 0AFAFAFA FF0055FB
	v_mul_f32_dpp v126, v251, v126 quad_perm:[2,2,2,2] row_mask:0xf bank_mask:0xf// 000000014D2C: 0AFCFCFA FF00AAFB
	v_mul_f32_dpp v127, v251, v127 quad_perm:[3,3,3,3] row_mask:0xf bank_mask:0xf// 000000014D34: 0AFEFEFA FF00FFFB
	buffer_load_dwordx4 a[20:23], v24, s[16:19], 0 offen offset:1024// 000000014D3C: E05C1400 80841418
	v_mov_b32_e32 v48, v112                                    // 000000014D44: 7E600370
	v_max3_f32 v48, v112, v113, v48                            // 000000014D48: D1D30030 04C2E370
	v_max3_f32 v48, v114, v115, v48                            // 000000014D50: D1D30030 04C2E772
	v_max3_f32 v48, v116, v117, v48                            // 000000014D58: D1D30030 04C2EB74
	v_max3_f32 v48, v118, v119, v48                            // 000000014D60: D1D30030 04C2EF76
	v_max3_f32 v48, v120, v121, v48                            // 000000014D68: D1D30030 04C2F378
	v_max3_f32 v48, v122, v123, v48                            // 000000014D70: D1D30030 04C2F77A
	v_max3_f32 v48, v124, v125, v48                            // 000000014D78: D1D30030 04C2FB7C
	v_max3_f32 v48, v126, v127, v48                            // 000000014D80: D1D30030 04C2FF7E
	ds_write_b32 v8, v48 offset:16896                          // 000000014D88: D81A4200 00003008
	buffer_load_dwordx4 a[24:27], v25, s[16:19], 0 offen       // 000000014D90: E05C1000 80841819
	v_mul_u32_u24_dpp v64, v16, v54 row_newbcast:1 row_mask:0xf bank_mask:0xf// 000000014D98: 10806CFA FF015110
	v_mul_u32_u24_dpp v65, v16, v54 row_newbcast:5 row_mask:0xf bank_mask:0xf// 000000014DA0: 10826CFA FF015510
	v_mul_u32_u24_dpp v66, v16, v54 row_newbcast:9 row_mask:0xf bank_mask:0xf// 000000014DA8: 10846CFA FF015910
	v_mul_u32_u24_dpp v67, v16, v54 row_newbcast:13 row_mask:0xf bank_mask:0xf// 000000014DB0: 10866CFA FF015D10
	v_add_u32_e32 v30, v64, v6                                 // 000000014DB8: 683C0D40
	v_add_u32_e32 v31, v65, v6                                 // 000000014DBC: 683E0D41
	v_add_u32_e32 v32, v66, v6                                 // 000000014DC0: 68400D42
	v_add_u32_e32 v33, v67, v6                                 // 000000014DC4: 68420D43
	v_mul_f32_e32 v208, v49, v208                              // 000000014DC8: 0BA1A131
	v_mul_f32_e32 v209, v49, v209                              // 000000014DCC: 0BA3A331
	v_mul_f32_e32 v210, v49, v210                              // 000000014DD0: 0BA5A531
	v_mul_f32_e32 v211, v49, v211                              // 000000014DD4: 0BA7A731
	v_mul_f32_e32 v212, v49, v212                              // 000000014DD8: 0BA9A931
	v_mul_f32_e32 v213, v49, v213                              // 000000014DDC: 0BABAB31
	v_mul_f32_e32 v214, v49, v214                              // 000000014DE0: 0BADAD31
	v_mul_f32_e32 v215, v49, v215                              // 000000014DE4: 0BAFAF31
	s_waitcnt lgkmcnt(0)                                       // 000000014DE8: BF8CC07F
	s_barrier                                                  // 000000014DEC: BF8A0000
	ds_read_b32 v64, v7 offset:16896                           // 000000014DF0: D86C4200 40000007
	ds_read_b32 v65, v7 offset:16960                           // 000000014DF8: D86C4240 41000007
	ds_read_b32 v66, v7 offset:17024                           // 000000014E00: D86C4280 42000007
	ds_read_b32 v67, v7 offset:17088                           // 000000014E08: D86C42C0 43000007
	ds_read_b32 v68, v7 offset:17152                           // 000000014E10: D86C4300 44000007
	ds_read_b32 v69, v7 offset:17216                           // 000000014E18: D86C4340 45000007
	ds_read_b32 v70, v7 offset:17280                           // 000000014E20: D86C4380 46000007
	ds_read_b32 v71, v7 offset:17344                           // 000000014E28: D86C43C0 47000007
	ds_read_b32 v72, v7 offset:17408                           // 000000014E30: D86C4400 48000007
	ds_read_b32 v73, v7 offset:17472                           // 000000014E38: D86C4440 49000007
	ds_read_b32 v74, v7 offset:17536                           // 000000014E40: D86C4480 4A000007
	ds_read_b32 v75, v7 offset:17600                           // 000000014E48: D86C44C0 4B000007
	ds_read_b32 v76, v7 offset:17664                           // 000000014E50: D86C4500 4C000007
	ds_read_b32 v77, v7 offset:17728                           // 000000014E58: D86C4540 4D000007
	ds_read_b32 v78, v7 offset:17792                           // 000000014E60: D86C4580 4E000007
	ds_read_b32 v79, v7 offset:17856                           // 000000014E68: D86C45C0 4F000007
	buffer_load_dwordx4 a[28:31], v25, s[16:19], 0 offen offset:1024// 000000014E70: E05C1400 80841C19
	v_cvt_f32_i32_e32 v176, v176                               // 000000014E78: 7F600BB0
	v_cvt_f32_i32_e32 v177, v177                               // 000000014E7C: 7F620BB1
	v_cvt_f32_i32_e32 v178, v178                               // 000000014E80: 7F640BB2
	v_cvt_f32_i32_e32 v179, v179                               // 000000014E84: 7F660BB3
	v_cvt_f32_i32_e32 v180, v180                               // 000000014E88: 7F680BB4
	v_cvt_f32_i32_e32 v181, v181                               // 000000014E8C: 7F6A0BB5
	v_cvt_f32_i32_e32 v182, v182                               // 000000014E90: 7F6C0BB6
	v_cvt_f32_i32_e32 v183, v183                               // 000000014E94: 7F6E0BB7
	v_mul_f32_e32 v176, v44, v176                              // 000000014E98: 0B61612C
	v_mul_f32_e32 v177, v44, v177                              // 000000014E9C: 0B63632C
	v_mul_f32_e32 v178, v44, v178                              // 000000014EA0: 0B65652C
	v_mul_f32_e32 v179, v44, v179                              // 000000014EA4: 0B67672C
	v_mul_f32_e32 v180, v44, v180                              // 000000014EA8: 0B69692C
	v_mul_f32_e32 v181, v44, v181                              // 000000014EAC: 0B6B6B2C
	v_mul_f32_e32 v182, v44, v182                              // 000000014EB0: 0B6D6D2C
	v_mul_f32_e32 v183, v44, v183                              // 000000014EB4: 0B6F6F2C
	s_waitcnt lgkmcnt(0)                                       // 000000014EB8: BF8CC07F
	v_max3_f32 v48, v64, v65, v48                              // 000000014EBC: D1D30030 04C28340
	v_max3_f32 v48, v66, v67, v48                              // 000000014EC4: D1D30030 04C28742
	v_max3_f32 v48, v68, v69, v48                              // 000000014ECC: D1D30030 04C28B44
	v_max3_f32 v48, v70, v71, v48                              // 000000014ED4: D1D30030 04C28F46
	v_max3_f32 v48, v72, v73, v48                              // 000000014EDC: D1D30030 04C29348
	v_max3_f32 v48, v74, v75, v48                              // 000000014EE4: D1D30030 04C2974A
	v_max3_f32 v48, v76, v77, v48                              // 000000014EEC: D1D30030 04C29B4C
	v_max3_f32 v48, v78, v79, v48                              // 000000014EF4: D1D30030 04C29F4E
	buffer_load_dwordx4 a[64:67], v30, s[20:23], 0 offen       // 000000014EFC: E05C1000 8085401E
	v_mov_b32_e32 v64, 0xff800000                              // 000000014F04: 7E8002FF FF800000
	v_cmp_eq_u32_e64 s[40:41], v64, v11                        // 000000014F0C: D0CA0028 00021740
	s_nop 1                                                    // 000000014F14: BF800001
	v_max_f32_e32 v15, v48, v11                                // 000000014F18: 161E1730
	v_mul_f32_e32 v53, s64, v15                                // 000000014F1C: 0A6A1E40
	v_fma_f32 v112, v112, s64, -v53                            // 000000014F20: D1CB0070 84D48170
	v_fma_f32 v113, v113, s64, -v53                            // 000000014F28: D1CB0071 84D48171
	v_fma_f32 v114, v114, s64, -v53                            // 000000014F30: D1CB0072 84D48172
	v_fma_f32 v115, v115, s64, -v53                            // 000000014F38: D1CB0073 84D48173
	v_fma_f32 v116, v116, s64, -v53                            // 000000014F40: D1CB0074 84D48174
	v_fma_f32 v117, v117, s64, -v53                            // 000000014F48: D1CB0075 84D48175
	v_fma_f32 v118, v118, s64, -v53                            // 000000014F50: D1CB0076 84D48176
	v_fma_f32 v119, v119, s64, -v53                            // 000000014F58: D1CB0077 84D48177
	v_fma_f32 v120, v120, s64, -v53                            // 000000014F60: D1CB0078 84D48178
	v_fma_f32 v121, v121, s64, -v53                            // 000000014F68: D1CB0079 84D48179
	v_fma_f32 v122, v122, s64, -v53                            // 000000014F70: D1CB007A 84D4817A
	v_fma_f32 v123, v123, s64, -v53                            // 000000014F78: D1CB007B 84D4817B
	v_fma_f32 v124, v124, s64, -v53                            // 000000014F80: D1CB007C 84D4817C
	v_fma_f32 v125, v125, s64, -v53                            // 000000014F88: D1CB007D 84D4817D
	v_fma_f32 v126, v126, s64, -v53                            // 000000014F90: D1CB007E 84D4817E
	v_fma_f32 v127, v127, s64, -v53                            // 000000014F98: D1CB007F 84D4817F
	buffer_load_dwordx4 a[68:71], v31, s[20:23], 0 offen       // 000000014FA0: E05C1000 8085441F
	v_exp_f32_e32 v112, v112                                   // 000000014FA8: 7EE04170
	v_exp_f32_e32 v113, v113                                   // 000000014FAC: 7EE24171
	v_exp_f32_e32 v114, v114                                   // 000000014FB0: 7EE44172
	v_exp_f32_e32 v115, v115                                   // 000000014FB4: 7EE64173
	v_exp_f32_e32 v116, v116                                   // 000000014FB8: 7EE84174
	v_exp_f32_e32 v117, v117                                   // 000000014FBC: 7EEA4175
	v_exp_f32_e32 v118, v118                                   // 000000014FC0: 7EEC4176
	v_exp_f32_e32 v119, v119                                   // 000000014FC4: 7EEE4177
	v_exp_f32_e32 v120, v120                                   // 000000014FC8: 7EF04178
	v_exp_f32_e32 v121, v121                                   // 000000014FCC: 7EF24179
	v_exp_f32_e32 v122, v122                                   // 000000014FD0: 7EF4417A
	v_exp_f32_e32 v123, v123                                   // 000000014FD4: 7EF6417B
	v_exp_f32_e32 v124, v124                                   // 000000014FD8: 7EF8417C
	v_exp_f32_e32 v125, v125                                   // 000000014FDC: 7EFA417D
	v_exp_f32_e32 v126, v126                                   // 000000014FE0: 7EFC417E
	v_exp_f32_e32 v127, v127                                   // 000000014FE4: 7EFE417F
	buffer_load_dwordx4 a[72:75], v32, s[20:23], 0 offen       // 000000014FE8: E05C1000 80854820
	v_mul_f32_dpp v240, v252, v112 quad_perm:[0,0,0,0] row_mask:0xf bank_mask:0xf// 000000014FF0: 0BE0E0FA FF0000FC
	v_mul_f32_dpp v241, v252, v113 quad_perm:[1,1,1,1] row_mask:0xf bank_mask:0xf// 000000014FF8: 0BE2E2FA FF0055FC
	v_mul_f32_dpp v242, v252, v114 quad_perm:[2,2,2,2] row_mask:0xf bank_mask:0xf// 000000015000: 0BE4E4FA FF00AAFC
	v_mul_f32_dpp v243, v252, v115 quad_perm:[3,3,3,3] row_mask:0xf bank_mask:0xf// 000000015008: 0BE6E6FA FF00FFFC
	v_mul_f32_dpp v244, v253, v116 quad_perm:[0,0,0,0] row_mask:0xf bank_mask:0xf// 000000015010: 0BE8E8FA FF0000FD
	v_mul_f32_dpp v245, v253, v117 quad_perm:[1,1,1,1] row_mask:0xf bank_mask:0xf// 000000015018: 0BEAEAFA FF0055FD
	v_mul_f32_dpp v246, v253, v118 quad_perm:[2,2,2,2] row_mask:0xf bank_mask:0xf// 000000015020: 0BECECFA FF00AAFD
	v_mul_f32_dpp v247, v253, v119 quad_perm:[3,3,3,3] row_mask:0xf bank_mask:0xf// 000000015028: 0BEEEEFA FF00FFFD
	v_mul_f32_dpp v248, v254, v120 quad_perm:[0,0,0,0] row_mask:0xf bank_mask:0xf// 000000015030: 0BF0F0FA FF0000FE
	v_mul_f32_dpp v249, v254, v121 quad_perm:[1,1,1,1] row_mask:0xf bank_mask:0xf// 000000015038: 0BF2F2FA FF0055FE
	v_mul_f32_dpp v250, v254, v122 quad_perm:[2,2,2,2] row_mask:0xf bank_mask:0xf// 000000015040: 0BF4F4FA FF00AAFE
	v_mul_f32_dpp v251, v254, v123 quad_perm:[3,3,3,3] row_mask:0xf bank_mask:0xf// 000000015048: 0BF6F6FA FF00FFFE
	v_mul_f32_dpp v252, v255, v124 quad_perm:[0,0,0,0] row_mask:0xf bank_mask:0xf// 000000015050: 0BF8F8FA FF0000FF
	v_mul_f32_dpp v253, v255, v125 quad_perm:[1,1,1,1] row_mask:0xf bank_mask:0xf// 000000015058: 0BFAFAFA FF0055FF
	v_mul_f32_dpp v254, v255, v126 quad_perm:[2,2,2,2] row_mask:0xf bank_mask:0xf// 000000015060: 0BFCFCFA FF00AAFF
	v_mul_f32_dpp v255, v255, v127 quad_perm:[3,3,3,3] row_mask:0xf bank_mask:0xf// 000000015068: 0BFEFEFA FF00FFFF
	v_mov_b32_e32 v48, 0x358637bd                              // 000000015070: 7E6002FF 358637BD
	v_max3_f32 v48, |v240|, |v241|, v48                        // 000000015078: D1D30330 04C3E3F0
	v_max3_f32 v48, |v242|, |v243|, v48                        // 000000015080: D1D30330 04C3E7F2
	v_max3_f32 v48, |v244|, |v245|, v48                        // 000000015088: D1D30330 04C3EBF4
	v_max3_f32 v48, |v246|, |v247|, v48                        // 000000015090: D1D30330 04C3EFF6
	v_max3_f32 v48, |v248|, |v249|, v48                        // 000000015098: D1D30330 04C3F3F8
	v_max3_f32 v48, |v250|, |v251|, v48                        // 0000000150A0: D1D30330 04C3F7FA
	v_max3_f32 v48, |v252|, |v253|, v48                        // 0000000150A8: D1D30330 04C3FBFC
	v_max3_f32 v48, |v254|, |v255|, v48                        // 0000000150B0: D1D30330 04C3FFFE
	buffer_load_dwordx4 a[76:79], v33, s[20:23], 0 offen       // 0000000150B8: E05C1000 80854C21
	ds_write_b32 v8, v48 offset:20992                          // 0000000150C0: D81A5200 00003008
	v_sub_f32_e32 v49, v11, v15                                // 0000000150C8: 04621F0B
	v_cndmask_b32_e64 v49, v49, 0, s[40:41]                    // 0000000150CC: D1000031 00A10131
	v_mov_b32_e32 v11, v15                                     // 0000000150D4: 7E16030F
	v_mul_f32_e32 v49, s64, v49                                // 0000000150D8: 0A626240
	v_exp_f32_e32 v49, v49                                     // 0000000150DC: 7E624131
	s_waitcnt lgkmcnt(0)                                       // 0000000150E0: BF8CC07F
	s_barrier                                                  // 0000000150E4: BF8A0000
	ds_read_b32 v64, v7 offset:20992                           // 0000000150E8: D86C5200 40000007
	ds_read_b32 v65, v7 offset:21056                           // 0000000150F0: D86C5240 41000007
	ds_read_b32 v66, v7 offset:21120                           // 0000000150F8: D86C5280 42000007
	ds_read_b32 v67, v7 offset:21184                           // 000000015100: D86C52C0 43000007
	ds_read_b32 v68, v7 offset:21248                           // 000000015108: D86C5300 44000007
	ds_read_b32 v69, v7 offset:21312                           // 000000015110: D86C5340 45000007
	ds_read_b32 v70, v7 offset:21376                           // 000000015118: D86C5380 46000007
	ds_read_b32 v71, v7 offset:21440                           // 000000015120: D86C53C0 47000007
	ds_read_b32 v72, v7 offset:21504                           // 000000015128: D86C5400 48000007
	ds_read_b32 v73, v7 offset:21568                           // 000000015130: D86C5440 49000007
	ds_read_b32 v74, v7 offset:21632                           // 000000015138: D86C5480 4A000007
	ds_read_b32 v75, v7 offset:21696                           // 000000015140: D86C54C0 4B000007
	ds_read_b32 v76, v7 offset:21760                           // 000000015148: D86C5500 4C000007
	ds_read_b32 v77, v7 offset:21824                           // 000000015150: D86C5540 4D000007
	ds_read_b32 v78, v7 offset:21888                           // 000000015158: D86C5580 4E000007
	ds_read_b32 v79, v7 offset:21952                           // 000000015160: D86C55C0 4F000007
	v_mul_f32_e32 v38, v49, v38                                // 000000015168: 0A4C4D31
	v_mov_b32_e32 v15, v112                                    // 00000001516C: 7E1E0370
	v_add_f32_e32 v15, v113, v15                               // 000000015170: 021E1F71
	v_add_f32_e32 v15, v114, v15                               // 000000015174: 021E1F72
	v_add_f32_e32 v15, v115, v15                               // 000000015178: 021E1F73
	v_add_f32_e32 v15, v116, v15                               // 00000001517C: 021E1F74
	v_add_f32_e32 v15, v117, v15                               // 000000015180: 021E1F75
	v_add_f32_e32 v15, v118, v15                               // 000000015184: 021E1F76
	v_add_f32_e32 v15, v119, v15                               // 000000015188: 021E1F77
	v_add_f32_e32 v15, v120, v15                               // 00000001518C: 021E1F78
	v_add_f32_e32 v15, v121, v15                               // 000000015190: 021E1F79
	v_add_f32_e32 v15, v122, v15                               // 000000015194: 021E1F7A
	v_add_f32_e32 v15, v123, v15                               // 000000015198: 021E1F7B
	v_add_f32_e32 v15, v124, v15                               // 00000001519C: 021E1F7C
	v_add_f32_e32 v15, v125, v15                               // 0000000151A0: 021E1F7D
	v_add_f32_e32 v15, v126, v15                               // 0000000151A4: 021E1F7E
	v_add_f32_e32 v15, v127, v15                               // 0000000151A8: 021E1F7F
	v_add_f32_e32 v38, v15, v38                                // 0000000151AC: 024C4D0F
	s_waitcnt lgkmcnt(0)                                       // 0000000151B0: BF8CC07F
	v_max3_f32 v48, |v64|, |v65|, v48                          // 0000000151B4: D1D30330 04C28340
	v_max3_f32 v48, |v66|, |v67|, v48                          // 0000000151BC: D1D30330 04C28742
	v_max3_f32 v48, |v68|, |v69|, v48                          // 0000000151C4: D1D30330 04C28B44
	v_max3_f32 v48, |v70|, |v71|, v48                          // 0000000151CC: D1D30330 04C28F46
	v_max3_f32 v48, |v72|, |v73|, v48                          // 0000000151D4: D1D30330 04C29348
	v_max3_f32 v48, |v74|, |v75|, v48                          // 0000000151DC: D1D30330 04C2974A
	v_max3_f32 v48, |v76|, |v77|, v48                          // 0000000151E4: D1D30330 04C29B4C
	v_max3_f32 v48, |v78|, |v79|, v48                          // 0000000151EC: D1D30330 04C29F4E
	s_nop 2                                                    // 0000000151F4: BF800002
	v_rcp_f32_e32 v48, v48                                     // 0000000151F8: 7E604530
	s_nop 1                                                    // 0000000151FC: BF800001
	v_mul_f32_e32 v48, 0x42fe0000, v48                         // 000000015200: 0A6060FF 42FE0000
	v_mul_f32_e32 v112, v48, v240                              // 000000015208: 0AE1E130
	v_mul_f32_e32 v113, v48, v241                              // 00000001520C: 0AE3E330
	v_mul_f32_e32 v114, v48, v242                              // 000000015210: 0AE5E530
	v_mul_f32_e32 v115, v48, v243                              // 000000015214: 0AE7E730
	v_mul_f32_e32 v116, v48, v244                              // 000000015218: 0AE9E930
	v_mul_f32_e32 v117, v48, v245                              // 00000001521C: 0AEBEB30
	v_mul_f32_e32 v118, v48, v246                              // 000000015220: 0AEDED30
	v_mul_f32_e32 v119, v48, v247                              // 000000015224: 0AEFEF30
	v_mul_f32_e32 v120, v48, v248                              // 000000015228: 0AF1F130
	v_mul_f32_e32 v121, v48, v249                              // 00000001522C: 0AF3F330
	v_mul_f32_e32 v122, v48, v250                              // 000000015230: 0AF5F530
	v_mul_f32_e32 v123, v48, v251                              // 000000015234: 0AF7F730
	v_mul_f32_e32 v124, v48, v252                              // 000000015238: 0AF9F930
	v_mul_f32_e32 v125, v48, v253                              // 00000001523C: 0AFBFB30
	v_mul_f32_e32 v126, v48, v254                              // 000000015240: 0AFDFD30
	v_mul_f32_e32 v127, v48, v255                              // 000000015244: 0AFFFF30
	v_cvt_i32_f32_e32 v112, v112                               // 000000015248: 7EE01170
	v_cvt_i32_f32_e32 v113, v113                               // 00000001524C: 7EE21171
	v_cvt_i32_f32_e32 v114, v114                               // 000000015250: 7EE41172
	v_cvt_i32_f32_e32 v115, v115                               // 000000015254: 7EE61173
	v_cvt_i32_f32_e32 v116, v116                               // 000000015258: 7EE81174
	v_cvt_i32_f32_e32 v117, v117                               // 00000001525C: 7EEA1175
	v_cvt_i32_f32_e32 v118, v118                               // 000000015260: 7EEC1176
	v_cvt_i32_f32_e32 v119, v119                               // 000000015264: 7EEE1177
	v_cvt_i32_f32_e32 v120, v120                               // 000000015268: 7EF01178
	v_cvt_i32_f32_e32 v121, v121                               // 00000001526C: 7EF21179
	v_cvt_i32_f32_e32 v122, v122                               // 000000015270: 7EF4117A
	v_cvt_i32_f32_e32 v123, v123                               // 000000015274: 7EF6117B
	v_cvt_i32_f32_e32 v124, v124                               // 000000015278: 7EF8117C
	v_cvt_i32_f32_e32 v125, v125                               // 00000001527C: 7EFA117D
	v_cvt_i32_f32_e32 v126, v126                               // 000000015280: 7EFC117E
	v_cvt_i32_f32_e32 v127, v127                               // 000000015284: 7EFE117F
	v_perm_b32 v112, v113, v112, s53                           // 000000015288: D1ED0070 00D6E171
	v_perm_b32 v112, v114, v112, s54                           // 000000015290: D1ED0070 00DAE172
	v_perm_b32 v112, v115, v112, s55                           // 000000015298: D1ED0070 00DEE173
	v_perm_b32 v113, v117, v116, s53                           // 0000000152A0: D1ED0071 00D6E975
	v_perm_b32 v113, v118, v113, s54                           // 0000000152A8: D1ED0071 00DAE376
	v_perm_b32 v113, v119, v113, s55                           // 0000000152B0: D1ED0071 00DEE377
	v_perm_b32 v114, v121, v120, s53                           // 0000000152B8: D1ED0072 00D6F179
	v_perm_b32 v114, v122, v114, s54                           // 0000000152C0: D1ED0072 00DAE57A
	v_perm_b32 v114, v123, v114, s55                           // 0000000152C8: D1ED0072 00DEE57B
	v_perm_b32 v115, v125, v124, s53                           // 0000000152D0: D1ED0073 00D6F97D
	v_perm_b32 v115, v126, v115, s54                           // 0000000152D8: D1ED0073 00DAE77E
	v_perm_b32 v115, v127, v115, s55                           // 0000000152E0: D1ED0073 00DEE77F
	ds_write_b32 v10, v112 offset:25088                        // 0000000152E8: D81A6200 0000700A
	ds_write_b32 v10, v113 offset:26112                        // 0000000152F0: D81A6600 0000710A
	ds_write_b32 v10, v114 offset:27136                        // 0000000152F8: D81A6A00 0000720A
	ds_write_b32 v10, v115 offset:28160                        // 000000015300: D81A6E00 0000730A
	v_add_f32_e32 v208, v208, v176                             // 000000015308: 03A161D0
	v_add_f32_e32 v209, v209, v177                             // 00000001530C: 03A363D1
	v_add_f32_e32 v210, v210, v178                             // 000000015310: 03A565D2
	v_add_f32_e32 v211, v211, v179                             // 000000015314: 03A767D3
	v_add_f32_e32 v212, v212, v180                             // 000000015318: 03A969D4
	v_add_f32_e32 v213, v213, v181                             // 00000001531C: 03AB6BD5
	v_add_f32_e32 v214, v214, v182                             // 000000015320: 03AD6DD6
	v_add_f32_e32 v215, v215, v183                             // 000000015324: 03AF6FD7
	v_rcp_f32_e32 v44, v48                                     // 000000015328: 7E584530
	s_waitcnt lgkmcnt(0)                                       // 00000001532C: BF8CC07F
	s_barrier                                                  // 000000015330: BF8A0000
	ds_read_b64 v[112:113], v9 offset:25088                    // 000000015334: D8EC6200 70000009
	ds_read_b64 v[114:115], v9 offset:25216                    // 00000001533C: D8EC6280 72000009
	ds_read_b64 v[116:117], v9 offset:26112                    // 000000015344: D8EC6600 74000009
	ds_read_b64 v[118:119], v9 offset:26240                    // 00000001534C: D8EC6680 76000009
	ds_read_b64 v[120:121], v9 offset:27136                    // 000000015354: D8EC6A00 78000009
	ds_read_b64 v[122:123], v9 offset:27264                    // 00000001535C: D8EC6A80 7A000009
	ds_read_b64 v[124:125], v9 offset:28160                    // 000000015364: D8EC6E00 7C000009
	ds_read_b64 v[126:127], v9 offset:28288                    // 00000001536C: D8EC6E80 7E000009
	v_mov_b32_dpp v64, v43 row_shr:4 row_mask:0xf bank_mask:0xf// 000000015374: 7E8002FA FF01142B
	v_mov_b32_dpp v65, v43 row_shl:4 row_mask:0xf bank_mask:0xf// 00000001537C: 7E8202FA FF01042B
	v_cndmask_b32_e64 v248, v43, v64, s[44:45]                 // 000000015384: D10000F8 00B2812B
	v_cndmask_b32_e64 v249, v65, v43, s[44:45]                 // 00000001538C: D10000F9 00B25741
	v_mov_b32_dpp v64, v248 row_shr:8 row_mask:0xf bank_mask:0xf// 000000015394: 7E8002FA FF0118F8
	v_mov_b32_dpp v65, v248 row_shl:8 row_mask:0xf bank_mask:0xf// 00000001539C: 7E8202FA FF0108F8
	v_mov_b32_dpp v66, v249 row_shr:8 row_mask:0xf bank_mask:0xf// 0000000153A4: 7E8402FA FF0118F9
	v_mov_b32_dpp v67, v249 row_shl:8 row_mask:0xf bank_mask:0xf// 0000000153AC: 7E8602FA FF0108F9
	v_mov_b32_e32 v68, v248                                    // 0000000153B4: 7E8803F8
	v_mov_b32_e32 v69, v249                                    // 0000000153B8: 7E8A03F9
	v_cndmask_b32_e64 v248, v68, v64, s[42:43]                 // 0000000153BC: D10000F8 00AA8144
	v_cndmask_b32_e64 v250, v68, v65, s[78:79]                 // 0000000153C4: D10000FA 013A8344
	v_cndmask_b32_e64 v249, v69, v66, s[42:43]                 // 0000000153CC: D10000F9 00AA8545
	v_cndmask_b32_e64 v251, v69, v67, s[78:79]                 // 0000000153D4: D10000FB 013A8745
	v_mov_b32_dpp v64, v58 row_shr:4 row_mask:0xf bank_mask:0xf// 0000000153DC: 7E8002FA FF01143A
	v_mov_b32_dpp v65, v58 row_shl:4 row_mask:0xf bank_mask:0xf// 0000000153E4: 7E8202FA FF01043A
	v_cndmask_b32_e64 v252, v58, v64, s[44:45]                 // 0000000153EC: D10000FC 00B2813A
	v_cndmask_b32_e64 v253, v65, v58, s[44:45]                 // 0000000153F4: D10000FD 00B27541
	v_mov_b32_dpp v64, v252 row_shr:8 row_mask:0xf bank_mask:0xf// 0000000153FC: 7E8002FA FF0118FC
	v_mov_b32_dpp v65, v252 row_shl:8 row_mask:0xf bank_mask:0xf// 000000015404: 7E8202FA FF0108FC
	v_mov_b32_dpp v66, v253 row_shr:8 row_mask:0xf bank_mask:0xf// 00000001540C: 7E8402FA FF0118FD
	v_mov_b32_dpp v67, v253 row_shl:8 row_mask:0xf bank_mask:0xf// 000000015414: 7E8602FA FF0108FD
	v_mov_b32_e32 v68, v252                                    // 00000001541C: 7E8803FC
	v_mov_b32_e32 v69, v253                                    // 000000015420: 7E8A03FD
	v_cndmask_b32_e64 v252, v68, v64, s[42:43]                 // 000000015424: D10000FC 00AA8144
	v_cndmask_b32_e64 v254, v68, v65, s[78:79]                 // 00000001542C: D10000FE 013A8344
	v_cndmask_b32_e64 v253, v69, v66, s[42:43]                 // 000000015434: D10000FD 00AA8545
	v_cndmask_b32_e64 v255, v69, v67, s[78:79]                 // 00000001543C: D10000FF 013A8745
	v_cvt_f32_i32_e32 v128, v128                               // 000000015444: 7F000B80
	v_cvt_f32_i32_e32 v129, v129                               // 000000015448: 7F020B81
	v_cvt_f32_i32_e32 v130, v130                               // 00000001544C: 7F040B82
	v_cvt_f32_i32_e32 v131, v131                               // 000000015450: 7F060B83
	v_cvt_f32_i32_e32 v132, v132                               // 000000015454: 7F080B84
	v_cvt_f32_i32_e32 v133, v133                               // 000000015458: 7F0A0B85
	v_cvt_f32_i32_e32 v134, v134                               // 00000001545C: 7F0C0B86
	v_cvt_f32_i32_e32 v135, v135                               // 000000015460: 7F0E0B87
	v_cvt_f32_i32_e32 v136, v136                               // 000000015464: 7F100B88
	v_cvt_f32_i32_e32 v137, v137                               // 000000015468: 7F120B89
	v_cvt_f32_i32_e32 v138, v138                               // 00000001546C: 7F140B8A
	v_cvt_f32_i32_e32 v139, v139                               // 000000015470: 7F160B8B
	v_cvt_f32_i32_e32 v140, v140                               // 000000015474: 7F180B8C
	v_cvt_f32_i32_e32 v141, v141                               // 000000015478: 7F1A0B8D
	v_cvt_f32_i32_e32 v142, v142                               // 00000001547C: 7F1C0B8E
	v_cvt_f32_i32_e32 v143, v143                               // 000000015480: 7F1E0B8F
	v_mul_f32_e32 v128, v19, v128                              // 000000015484: 0B010113
	v_mul_f32_e32 v129, v19, v129                              // 000000015488: 0B030313
	v_mul_f32_e32 v130, v19, v130                              // 00000001548C: 0B050513
	v_mul_f32_e32 v131, v19, v131                              // 000000015490: 0B070713
	v_mul_f32_e32 v132, v19, v132                              // 000000015494: 0B090913
	v_mul_f32_e32 v133, v19, v133                              // 000000015498: 0B0B0B13
	v_mul_f32_e32 v134, v19, v134                              // 00000001549C: 0B0D0D13
	v_mul_f32_e32 v135, v19, v135                              // 0000000154A0: 0B0F0F13
	v_mul_f32_e32 v136, v19, v136                              // 0000000154A4: 0B111113
	v_mul_f32_e32 v137, v19, v137                              // 0000000154A8: 0B131313
	v_mul_f32_e32 v138, v19, v138                              // 0000000154AC: 0B151513
	v_mul_f32_e32 v139, v19, v139                              // 0000000154B0: 0B171713
	v_mul_f32_e32 v140, v19, v140                              // 0000000154B4: 0B191913
	v_mul_f32_e32 v141, v19, v141                              // 0000000154B8: 0B1B1B13
	v_mul_f32_e32 v142, v19, v142                              // 0000000154BC: 0B1D1D13
	v_mul_f32_e32 v143, v19, v143                              // 0000000154C0: 0B1F1F13
	v_mul_f32_dpp v128, v248, v128 quad_perm:[0,0,0,0] row_mask:0xf bank_mask:0xf// 0000000154C4: 0B0100FA FF0000F8
	v_mul_f32_dpp v129, v248, v129 quad_perm:[1,1,1,1] row_mask:0xf bank_mask:0xf// 0000000154CC: 0B0302FA FF0055F8
	v_mul_f32_dpp v130, v248, v130 quad_perm:[2,2,2,2] row_mask:0xf bank_mask:0xf// 0000000154D4: 0B0504FA FF00AAF8
	v_mul_f32_dpp v131, v248, v131 quad_perm:[3,3,3,3] row_mask:0xf bank_mask:0xf// 0000000154DC: 0B0706FA FF00FFF8
	v_mul_f32_dpp v132, v249, v132 quad_perm:[0,0,0,0] row_mask:0xf bank_mask:0xf// 0000000154E4: 0B0908FA FF0000F9
	v_mul_f32_dpp v133, v249, v133 quad_perm:[1,1,1,1] row_mask:0xf bank_mask:0xf// 0000000154EC: 0B0B0AFA FF0055F9
	v_mul_f32_dpp v134, v249, v134 quad_perm:[2,2,2,2] row_mask:0xf bank_mask:0xf// 0000000154F4: 0B0D0CFA FF00AAF9
	v_mul_f32_dpp v135, v249, v135 quad_perm:[3,3,3,3] row_mask:0xf bank_mask:0xf// 0000000154FC: 0B0F0EFA FF00FFF9
	v_mul_f32_dpp v136, v250, v136 quad_perm:[0,0,0,0] row_mask:0xf bank_mask:0xf// 000000015504: 0B1110FA FF0000FA
	v_mul_f32_dpp v137, v250, v137 quad_perm:[1,1,1,1] row_mask:0xf bank_mask:0xf// 00000001550C: 0B1312FA FF0055FA
	v_mul_f32_dpp v138, v250, v138 quad_perm:[2,2,2,2] row_mask:0xf bank_mask:0xf// 000000015514: 0B1514FA FF00AAFA
	v_mul_f32_dpp v139, v250, v139 quad_perm:[3,3,3,3] row_mask:0xf bank_mask:0xf// 00000001551C: 0B1716FA FF00FFFA
	v_mul_f32_dpp v140, v251, v140 quad_perm:[0,0,0,0] row_mask:0xf bank_mask:0xf// 000000015524: 0B1918FA FF0000FB
	v_mul_f32_dpp v141, v251, v141 quad_perm:[1,1,1,1] row_mask:0xf bank_mask:0xf// 00000001552C: 0B1B1AFA FF0055FB
	v_mul_f32_dpp v142, v251, v142 quad_perm:[2,2,2,2] row_mask:0xf bank_mask:0xf// 000000015534: 0B1D1CFA FF00AAFB
	v_mul_f32_dpp v143, v251, v143 quad_perm:[3,3,3,3] row_mask:0xf bank_mask:0xf// 00000001553C: 0B1F1EFA FF00FFFB
	v_mov_b32_e32 v48, v128                                    // 000000015544: 7E600380
	v_max3_f32 v48, v128, v129, v48                            // 000000015548: D1D30030 04C30380
	v_max3_f32 v48, v130, v131, v48                            // 000000015550: D1D30030 04C30782
	v_max3_f32 v48, v132, v133, v48                            // 000000015558: D1D30030 04C30B84
	v_max3_f32 v48, v134, v135, v48                            // 000000015560: D1D30030 04C30F86
	v_max3_f32 v48, v136, v137, v48                            // 000000015568: D1D30030 04C31388
	v_max3_f32 v48, v138, v139, v48                            // 000000015570: D1D30030 04C3178A
	v_max3_f32 v48, v140, v141, v48                            // 000000015578: D1D30030 04C31B8C
	v_max3_f32 v48, v142, v143, v48                            // 000000015580: D1D30030 04C31F8E
	ds_write_b32 v8, v48 offset:16896                          // 000000015588: D81A4200 00003008
	v_mul_f32_e32 v216, v50, v216                              // 000000015590: 0BB1B132
	v_mul_f32_e32 v217, v50, v217                              // 000000015594: 0BB3B332
	v_mul_f32_e32 v218, v50, v218                              // 000000015598: 0BB5B532
	v_mul_f32_e32 v219, v50, v219                              // 00000001559C: 0BB7B732
	v_mul_f32_e32 v220, v50, v220                              // 0000000155A0: 0BB9B932
	v_mul_f32_e32 v221, v50, v221                              // 0000000155A4: 0BBBBB32
	v_mul_f32_e32 v222, v50, v222                              // 0000000155A8: 0BBDBD32
	v_mul_f32_e32 v223, v50, v223                              // 0000000155AC: 0BBFBF32
	s_waitcnt lgkmcnt(0)                                       // 0000000155B0: BF8CC07F
	s_barrier                                                  // 0000000155B4: BF8A0000
	ds_read_b32 v64, v7 offset:16896                           // 0000000155B8: D86C4200 40000007
	ds_read_b32 v65, v7 offset:16960                           // 0000000155C0: D86C4240 41000007
	ds_read_b32 v66, v7 offset:17024                           // 0000000155C8: D86C4280 42000007
	ds_read_b32 v67, v7 offset:17088                           // 0000000155D0: D86C42C0 43000007
	ds_read_b32 v68, v7 offset:17152                           // 0000000155D8: D86C4300 44000007
	ds_read_b32 v69, v7 offset:17216                           // 0000000155E0: D86C4340 45000007
	ds_read_b32 v70, v7 offset:17280                           // 0000000155E8: D86C4380 46000007
	ds_read_b32 v71, v7 offset:17344                           // 0000000155F0: D86C43C0 47000007
	ds_read_b32 v72, v7 offset:17408                           // 0000000155F8: D86C4400 48000007
	ds_read_b32 v73, v7 offset:17472                           // 000000015600: D86C4440 49000007
	ds_read_b32 v74, v7 offset:17536                           // 000000015608: D86C4480 4A000007
	ds_read_b32 v75, v7 offset:17600                           // 000000015610: D86C44C0 4B000007
	ds_read_b32 v76, v7 offset:17664                           // 000000015618: D86C4500 4C000007
	ds_read_b32 v77, v7 offset:17728                           // 000000015620: D86C4540 4D000007
	ds_read_b32 v78, v7 offset:17792                           // 000000015628: D86C4580 4E000007
	ds_read_b32 v79, v7 offset:17856                           // 000000015630: D86C45C0 4F000007
	v_cvt_f32_i32_e32 v184, v184                               // 000000015638: 7F700BB8
	v_cvt_f32_i32_e32 v185, v185                               // 00000001563C: 7F720BB9
	v_cvt_f32_i32_e32 v186, v186                               // 000000015640: 7F740BBA
	v_cvt_f32_i32_e32 v187, v187                               // 000000015644: 7F760BBB
	v_cvt_f32_i32_e32 v188, v188                               // 000000015648: 7F780BBC
	v_cvt_f32_i32_e32 v189, v189                               // 00000001564C: 7F7A0BBD
	v_cvt_f32_i32_e32 v190, v190                               // 000000015650: 7F7C0BBE
	v_cvt_f32_i32_e32 v191, v191                               // 000000015654: 7F7E0BBF
	v_mul_f32_e32 v184, v45, v184                              // 000000015658: 0B71712D
	v_mul_f32_e32 v185, v45, v185                              // 00000001565C: 0B73732D
	v_mul_f32_e32 v186, v45, v186                              // 000000015660: 0B75752D
	v_mul_f32_e32 v187, v45, v187                              // 000000015664: 0B77772D
	v_mul_f32_e32 v188, v45, v188                              // 000000015668: 0B79792D
	v_mul_f32_e32 v189, v45, v189                              // 00000001566C: 0B7B7B2D
	v_mul_f32_e32 v190, v45, v190                              // 000000015670: 0B7D7D2D
	v_mul_f32_e32 v191, v45, v191                              // 000000015674: 0B7F7F2D
	s_waitcnt lgkmcnt(0)                                       // 000000015678: BF8CC07F
	v_max3_f32 v48, v64, v65, v48                              // 00000001567C: D1D30030 04C28340
	v_max3_f32 v48, v66, v67, v48                              // 000000015684: D1D30030 04C28742
	v_max3_f32 v48, v68, v69, v48                              // 00000001568C: D1D30030 04C28B44
	v_max3_f32 v48, v70, v71, v48                              // 000000015694: D1D30030 04C28F46
	v_max3_f32 v48, v72, v73, v48                              // 00000001569C: D1D30030 04C29348
	v_max3_f32 v48, v74, v75, v48                              // 0000000156A4: D1D30030 04C2974A
	v_max3_f32 v48, v76, v77, v48                              // 0000000156AC: D1D30030 04C29B4C
	v_max3_f32 v48, v78, v79, v48                              // 0000000156B4: D1D30030 04C29F4E
	v_mov_b32_e32 v64, 0xff800000                              // 0000000156BC: 7E8002FF FF800000
	v_cmp_eq_u32_e64 s[40:41], v64, v12                        // 0000000156C4: D0CA0028 00021940
	s_nop 1                                                    // 0000000156CC: BF800001
	v_max_f32_e32 v15, v48, v12                                // 0000000156D0: 161E1930
	v_mul_f32_e32 v53, s64, v15                                // 0000000156D4: 0A6A1E40
	v_fma_f32 v128, v128, s64, -v53                            // 0000000156D8: D1CB0080 84D48180
	v_fma_f32 v129, v129, s64, -v53                            // 0000000156E0: D1CB0081 84D48181
	v_fma_f32 v130, v130, s64, -v53                            // 0000000156E8: D1CB0082 84D48182
	v_fma_f32 v131, v131, s64, -v53                            // 0000000156F0: D1CB0083 84D48183
	v_fma_f32 v132, v132, s64, -v53                            // 0000000156F8: D1CB0084 84D48184
	v_fma_f32 v133, v133, s64, -v53                            // 000000015700: D1CB0085 84D48185
	v_fma_f32 v134, v134, s64, -v53                            // 000000015708: D1CB0086 84D48186
	v_fma_f32 v135, v135, s64, -v53                            // 000000015710: D1CB0087 84D48187
	v_fma_f32 v136, v136, s64, -v53                            // 000000015718: D1CB0088 84D48188
	v_fma_f32 v137, v137, s64, -v53                            // 000000015720: D1CB0089 84D48189
	v_fma_f32 v138, v138, s64, -v53                            // 000000015728: D1CB008A 84D4818A
	v_fma_f32 v139, v139, s64, -v53                            // 000000015730: D1CB008B 84D4818B
	v_fma_f32 v140, v140, s64, -v53                            // 000000015738: D1CB008C 84D4818C
	v_fma_f32 v141, v141, s64, -v53                            // 000000015740: D1CB008D 84D4818D
	v_fma_f32 v142, v142, s64, -v53                            // 000000015748: D1CB008E 84D4818E
	v_fma_f32 v143, v143, s64, -v53                            // 000000015750: D1CB008F 84D4818F
	v_exp_f32_e32 v128, v128                                   // 000000015758: 7F004180
	v_exp_f32_e32 v129, v129                                   // 00000001575C: 7F024181
	v_exp_f32_e32 v130, v130                                   // 000000015760: 7F044182
	v_exp_f32_e32 v131, v131                                   // 000000015764: 7F064183
	v_exp_f32_e32 v132, v132                                   // 000000015768: 7F084184
	v_exp_f32_e32 v133, v133                                   // 00000001576C: 7F0A4185
	v_exp_f32_e32 v134, v134                                   // 000000015770: 7F0C4186
	v_exp_f32_e32 v135, v135                                   // 000000015774: 7F0E4187
	v_exp_f32_e32 v136, v136                                   // 000000015778: 7F104188
	v_exp_f32_e32 v137, v137                                   // 00000001577C: 7F124189
	v_exp_f32_e32 v138, v138                                   // 000000015780: 7F14418A
	v_exp_f32_e32 v139, v139                                   // 000000015784: 7F16418B
	v_exp_f32_e32 v140, v140                                   // 000000015788: 7F18418C
	v_exp_f32_e32 v141, v141                                   // 00000001578C: 7F1A418D
	v_exp_f32_e32 v142, v142                                   // 000000015790: 7F1C418E
	v_exp_f32_e32 v143, v143                                   // 000000015794: 7F1E418F
	v_mul_f32_dpp v240, v252, v128 quad_perm:[0,0,0,0] row_mask:0xf bank_mask:0xf// 000000015798: 0BE100FA FF0000FC
	v_mul_f32_dpp v241, v252, v129 quad_perm:[1,1,1,1] row_mask:0xf bank_mask:0xf// 0000000157A0: 0BE302FA FF0055FC
	v_mul_f32_dpp v242, v252, v130 quad_perm:[2,2,2,2] row_mask:0xf bank_mask:0xf// 0000000157A8: 0BE504FA FF00AAFC
	v_mul_f32_dpp v243, v252, v131 quad_perm:[3,3,3,3] row_mask:0xf bank_mask:0xf// 0000000157B0: 0BE706FA FF00FFFC
	v_mul_f32_dpp v244, v253, v132 quad_perm:[0,0,0,0] row_mask:0xf bank_mask:0xf// 0000000157B8: 0BE908FA FF0000FD
	v_mul_f32_dpp v245, v253, v133 quad_perm:[1,1,1,1] row_mask:0xf bank_mask:0xf// 0000000157C0: 0BEB0AFA FF0055FD
	v_mul_f32_dpp v246, v253, v134 quad_perm:[2,2,2,2] row_mask:0xf bank_mask:0xf// 0000000157C8: 0BED0CFA FF00AAFD
	v_mul_f32_dpp v247, v253, v135 quad_perm:[3,3,3,3] row_mask:0xf bank_mask:0xf// 0000000157D0: 0BEF0EFA FF00FFFD
	v_mul_f32_dpp v248, v254, v136 quad_perm:[0,0,0,0] row_mask:0xf bank_mask:0xf// 0000000157D8: 0BF110FA FF0000FE
	v_mul_f32_dpp v249, v254, v137 quad_perm:[1,1,1,1] row_mask:0xf bank_mask:0xf// 0000000157E0: 0BF312FA FF0055FE
	v_mul_f32_dpp v250, v254, v138 quad_perm:[2,2,2,2] row_mask:0xf bank_mask:0xf// 0000000157E8: 0BF514FA FF00AAFE
	v_mul_f32_dpp v251, v254, v139 quad_perm:[3,3,3,3] row_mask:0xf bank_mask:0xf// 0000000157F0: 0BF716FA FF00FFFE
	v_mul_f32_dpp v252, v255, v140 quad_perm:[0,0,0,0] row_mask:0xf bank_mask:0xf// 0000000157F8: 0BF918FA FF0000FF
	v_mul_f32_dpp v253, v255, v141 quad_perm:[1,1,1,1] row_mask:0xf bank_mask:0xf// 000000015800: 0BFB1AFA FF0055FF
	v_mul_f32_dpp v254, v255, v142 quad_perm:[2,2,2,2] row_mask:0xf bank_mask:0xf// 000000015808: 0BFD1CFA FF00AAFF
	v_mul_f32_dpp v255, v255, v143 quad_perm:[3,3,3,3] row_mask:0xf bank_mask:0xf// 000000015810: 0BFF1EFA FF00FFFF
	v_mov_b32_e32 v48, 0x358637bd                              // 000000015818: 7E6002FF 358637BD
	v_max3_f32 v48, |v240|, |v241|, v48                        // 000000015820: D1D30330 04C3E3F0
	v_max3_f32 v48, |v242|, |v243|, v48                        // 000000015828: D1D30330 04C3E7F2
	v_max3_f32 v48, |v244|, |v245|, v48                        // 000000015830: D1D30330 04C3EBF4
	v_max3_f32 v48, |v246|, |v247|, v48                        // 000000015838: D1D30330 04C3EFF6
	v_max3_f32 v48, |v248|, |v249|, v48                        // 000000015840: D1D30330 04C3F3F8
	v_max3_f32 v48, |v250|, |v251|, v48                        // 000000015848: D1D30330 04C3F7FA
	v_max3_f32 v48, |v252|, |v253|, v48                        // 000000015850: D1D30330 04C3FBFC
	v_max3_f32 v48, |v254|, |v255|, v48                        // 000000015858: D1D30330 04C3FFFE
	ds_write_b32 v8, v48 offset:20992                          // 000000015860: D81A5200 00003008
	v_sub_f32_e32 v50, v12, v15                                // 000000015868: 04641F0C
	v_cndmask_b32_e64 v50, v50, 0, s[40:41]                    // 00000001586C: D1000032 00A10132
	v_mov_b32_e32 v12, v15                                     // 000000015874: 7E18030F
	v_mul_f32_e32 v50, s64, v50                                // 000000015878: 0A646440
	v_exp_f32_e32 v50, v50                                     // 00000001587C: 7E644132
	s_waitcnt lgkmcnt(0)                                       // 000000015880: BF8CC07F
	s_barrier                                                  // 000000015884: BF8A0000
	ds_read_b32 v64, v7 offset:20992                           // 000000015888: D86C5200 40000007
	ds_read_b32 v65, v7 offset:21056                           // 000000015890: D86C5240 41000007
	ds_read_b32 v66, v7 offset:21120                           // 000000015898: D86C5280 42000007
	ds_read_b32 v67, v7 offset:21184                           // 0000000158A0: D86C52C0 43000007
	ds_read_b32 v68, v7 offset:21248                           // 0000000158A8: D86C5300 44000007
	ds_read_b32 v69, v7 offset:21312                           // 0000000158B0: D86C5340 45000007
	ds_read_b32 v70, v7 offset:21376                           // 0000000158B8: D86C5380 46000007
	ds_read_b32 v71, v7 offset:21440                           // 0000000158C0: D86C53C0 47000007
	ds_read_b32 v72, v7 offset:21504                           // 0000000158C8: D86C5400 48000007
	ds_read_b32 v73, v7 offset:21568                           // 0000000158D0: D86C5440 49000007
	ds_read_b32 v74, v7 offset:21632                           // 0000000158D8: D86C5480 4A000007
	ds_read_b32 v75, v7 offset:21696                           // 0000000158E0: D86C54C0 4B000007
	ds_read_b32 v76, v7 offset:21760                           // 0000000158E8: D86C5500 4C000007
	ds_read_b32 v77, v7 offset:21824                           // 0000000158F0: D86C5540 4D000007
	ds_read_b32 v78, v7 offset:21888                           // 0000000158F8: D86C5580 4E000007
	ds_read_b32 v79, v7 offset:21952                           // 000000015900: D86C55C0 4F000007
	v_mul_f32_e32 v39, v50, v39                                // 000000015908: 0A4E4F32
	v_mov_b32_e32 v15, v128                                    // 00000001590C: 7E1E0380
	v_add_f32_e32 v15, v129, v15                               // 000000015910: 021E1F81
	v_add_f32_e32 v15, v130, v15                               // 000000015914: 021E1F82
	v_add_f32_e32 v15, v131, v15                               // 000000015918: 021E1F83
	v_add_f32_e32 v15, v132, v15                               // 00000001591C: 021E1F84
	v_add_f32_e32 v15, v133, v15                               // 000000015920: 021E1F85
	v_add_f32_e32 v15, v134, v15                               // 000000015924: 021E1F86
	v_add_f32_e32 v15, v135, v15                               // 000000015928: 021E1F87
	v_add_f32_e32 v15, v136, v15                               // 00000001592C: 021E1F88
	v_add_f32_e32 v15, v137, v15                               // 000000015930: 021E1F89
	v_add_f32_e32 v15, v138, v15                               // 000000015934: 021E1F8A
	v_add_f32_e32 v15, v139, v15                               // 000000015938: 021E1F8B
	v_add_f32_e32 v15, v140, v15                               // 00000001593C: 021E1F8C
	v_add_f32_e32 v15, v141, v15                               // 000000015940: 021E1F8D
	v_add_f32_e32 v15, v142, v15                               // 000000015944: 021E1F8E
	v_add_f32_e32 v15, v143, v15                               // 000000015948: 021E1F8F
	v_add_f32_e32 v39, v15, v39                                // 00000001594C: 024E4F0F
	s_waitcnt lgkmcnt(0)                                       // 000000015950: BF8CC07F
	v_max3_f32 v48, |v64|, |v65|, v48                          // 000000015954: D1D30330 04C28340
	v_max3_f32 v48, |v66|, |v67|, v48                          // 00000001595C: D1D30330 04C28742
	v_max3_f32 v48, |v68|, |v69|, v48                          // 000000015964: D1D30330 04C28B44
	v_max3_f32 v48, |v70|, |v71|, v48                          // 00000001596C: D1D30330 04C28F46
	v_max3_f32 v48, |v72|, |v73|, v48                          // 000000015974: D1D30330 04C29348
	v_max3_f32 v48, |v74|, |v75|, v48                          // 00000001597C: D1D30330 04C2974A
	v_max3_f32 v48, |v76|, |v77|, v48                          // 000000015984: D1D30330 04C29B4C
	v_max3_f32 v48, |v78|, |v79|, v48                          // 00000001598C: D1D30330 04C29F4E
	s_nop 2                                                    // 000000015994: BF800002
	v_rcp_f32_e32 v48, v48                                     // 000000015998: 7E604530
	s_nop 1                                                    // 00000001599C: BF800001
	v_mul_f32_e32 v48, 0x42fe0000, v48                         // 0000000159A0: 0A6060FF 42FE0000
	v_mul_f32_e32 v128, v48, v240                              // 0000000159A8: 0B01E130
	v_mul_f32_e32 v129, v48, v241                              // 0000000159AC: 0B03E330
	v_mul_f32_e32 v130, v48, v242                              // 0000000159B0: 0B05E530
	v_mul_f32_e32 v131, v48, v243                              // 0000000159B4: 0B07E730
	v_mul_f32_e32 v132, v48, v244                              // 0000000159B8: 0B09E930
	v_mul_f32_e32 v133, v48, v245                              // 0000000159BC: 0B0BEB30
	v_mul_f32_e32 v134, v48, v246                              // 0000000159C0: 0B0DED30
	v_mul_f32_e32 v135, v48, v247                              // 0000000159C4: 0B0FEF30
	v_mul_f32_e32 v136, v48, v248                              // 0000000159C8: 0B11F130
	v_mul_f32_e32 v137, v48, v249                              // 0000000159CC: 0B13F330
	v_mul_f32_e32 v138, v48, v250                              // 0000000159D0: 0B15F530
	v_mul_f32_e32 v139, v48, v251                              // 0000000159D4: 0B17F730
	v_mul_f32_e32 v140, v48, v252                              // 0000000159D8: 0B19F930
	v_mul_f32_e32 v141, v48, v253                              // 0000000159DC: 0B1BFB30
	v_mul_f32_e32 v142, v48, v254                              // 0000000159E0: 0B1DFD30
	v_mul_f32_e32 v143, v48, v255                              // 0000000159E4: 0B1FFF30
	v_cvt_i32_f32_e32 v128, v128                               // 0000000159E8: 7F001180
	v_cvt_i32_f32_e32 v129, v129                               // 0000000159EC: 7F021181
	v_cvt_i32_f32_e32 v130, v130                               // 0000000159F0: 7F041182
	v_cvt_i32_f32_e32 v131, v131                               // 0000000159F4: 7F061183
	v_cvt_i32_f32_e32 v132, v132                               // 0000000159F8: 7F081184
	v_cvt_i32_f32_e32 v133, v133                               // 0000000159FC: 7F0A1185
	v_cvt_i32_f32_e32 v134, v134                               // 000000015A00: 7F0C1186
	v_cvt_i32_f32_e32 v135, v135                               // 000000015A04: 7F0E1187
	v_cvt_i32_f32_e32 v136, v136                               // 000000015A08: 7F101188
	v_cvt_i32_f32_e32 v137, v137                               // 000000015A0C: 7F121189
	v_cvt_i32_f32_e32 v138, v138                               // 000000015A10: 7F14118A
	v_cvt_i32_f32_e32 v139, v139                               // 000000015A14: 7F16118B
	v_cvt_i32_f32_e32 v140, v140                               // 000000015A18: 7F18118C
	v_cvt_i32_f32_e32 v141, v141                               // 000000015A1C: 7F1A118D
	v_cvt_i32_f32_e32 v142, v142                               // 000000015A20: 7F1C118E
	v_cvt_i32_f32_e32 v143, v143                               // 000000015A24: 7F1E118F
	v_perm_b32 v128, v129, v128, s53                           // 000000015A28: D1ED0080 00D70181
	v_perm_b32 v128, v130, v128, s54                           // 000000015A30: D1ED0080 00DB0182
	v_perm_b32 v128, v131, v128, s55                           // 000000015A38: D1ED0080 00DF0183
	v_perm_b32 v129, v133, v132, s53                           // 000000015A40: D1ED0081 00D70985
	v_perm_b32 v129, v134, v129, s54                           // 000000015A48: D1ED0081 00DB0386
	v_perm_b32 v129, v135, v129, s55                           // 000000015A50: D1ED0081 00DF0387
	v_perm_b32 v130, v137, v136, s53                           // 000000015A58: D1ED0082 00D71189
	v_perm_b32 v130, v138, v130, s54                           // 000000015A60: D1ED0082 00DB058A
	v_perm_b32 v130, v139, v130, s55                           // 000000015A68: D1ED0082 00DF058B
	v_perm_b32 v131, v141, v140, s53                           // 000000015A70: D1ED0083 00D7198D
	v_perm_b32 v131, v142, v131, s54                           // 000000015A78: D1ED0083 00DB078E
	v_perm_b32 v131, v143, v131, s55                           // 000000015A80: D1ED0083 00DF078F
	ds_write_b32 v10, v128 offset:29184                        // 000000015A88: D81A7200 0000800A
	ds_write_b32 v10, v129 offset:30208                        // 000000015A90: D81A7600 0000810A
	ds_write_b32 v10, v130 offset:31232                        // 000000015A98: D81A7A00 0000820A
	ds_write_b32 v10, v131 offset:32256                        // 000000015AA0: D81A7E00 0000830A
	v_add_f32_e32 v216, v216, v184                             // 000000015AA8: 03B171D8
	v_add_f32_e32 v217, v217, v185                             // 000000015AAC: 03B373D9
	v_add_f32_e32 v218, v218, v186                             // 000000015AB0: 03B575DA
	v_add_f32_e32 v219, v219, v187                             // 000000015AB4: 03B777DB
	v_add_f32_e32 v220, v220, v188                             // 000000015AB8: 03B979DC
	v_add_f32_e32 v221, v221, v189                             // 000000015ABC: 03BB7BDD
	v_add_f32_e32 v222, v222, v190                             // 000000015AC0: 03BD7DDE
	v_add_f32_e32 v223, v223, v191                             // 000000015AC4: 03BF7FDF
	v_rcp_f32_e32 v45, v48                                     // 000000015AC8: 7E5A4530
	s_waitcnt lgkmcnt(0)                                       // 000000015ACC: BF8CC07F
	s_barrier                                                  // 000000015AD0: BF8A0000
	ds_read_b64 v[128:129], v9 offset:29184                    // 000000015AD4: D8EC7200 80000009
	ds_read_b64 v[130:131], v9 offset:29312                    // 000000015ADC: D8EC7280 82000009
	ds_read_b64 v[132:133], v9 offset:30208                    // 000000015AE4: D8EC7600 84000009
	ds_read_b64 v[134:135], v9 offset:30336                    // 000000015AEC: D8EC7680 86000009
	ds_read_b64 v[136:137], v9 offset:31232                    // 000000015AF4: D8EC7A00 88000009
	ds_read_b64 v[138:139], v9 offset:31360                    // 000000015AFC: D8EC7A80 8A000009
	ds_read_b64 v[140:141], v9 offset:32256                    // 000000015B04: D8EC7E00 8C000009
	ds_read_b64 v[142:143], v9 offset:32384                    // 000000015B0C: D8EC7E80 8E000009
	v_mov_b32_dpp v64, v43 row_shr:4 row_mask:0xf bank_mask:0xf// 000000015B14: 7E8002FA FF01142B
	v_mov_b32_dpp v65, v43 row_shl:4 row_mask:0xf bank_mask:0xf// 000000015B1C: 7E8202FA FF01042B
	v_cndmask_b32_e64 v248, v43, v64, s[44:45]                 // 000000015B24: D10000F8 00B2812B
	v_cndmask_b32_e64 v249, v65, v43, s[44:45]                 // 000000015B2C: D10000F9 00B25741
	v_mov_b32_dpp v64, v248 row_shr:8 row_mask:0xf bank_mask:0xf// 000000015B34: 7E8002FA FF0118F8
	v_mov_b32_dpp v65, v248 row_shl:8 row_mask:0xf bank_mask:0xf// 000000015B3C: 7E8202FA FF0108F8
	v_mov_b32_dpp v66, v249 row_shr:8 row_mask:0xf bank_mask:0xf// 000000015B44: 7E8402FA FF0118F9
	v_mov_b32_dpp v67, v249 row_shl:8 row_mask:0xf bank_mask:0xf// 000000015B4C: 7E8602FA FF0108F9
	v_mov_b32_e32 v68, v248                                    // 000000015B54: 7E8803F8
	v_mov_b32_e32 v69, v249                                    // 000000015B58: 7E8A03F9
	v_cndmask_b32_e64 v248, v68, v64, s[42:43]                 // 000000015B5C: D10000F8 00AA8144
	v_cndmask_b32_e64 v250, v68, v65, s[78:79]                 // 000000015B64: D10000FA 013A8344
	v_cndmask_b32_e64 v249, v69, v66, s[42:43]                 // 000000015B6C: D10000F9 00AA8545
	v_cndmask_b32_e64 v251, v69, v67, s[78:79]                 // 000000015B74: D10000FB 013A8745
	v_mov_b32_dpp v64, v58 row_shr:4 row_mask:0xf bank_mask:0xf// 000000015B7C: 7E8002FA FF01143A
	v_mov_b32_dpp v65, v58 row_shl:4 row_mask:0xf bank_mask:0xf// 000000015B84: 7E8202FA FF01043A
	v_cndmask_b32_e64 v252, v58, v64, s[44:45]                 // 000000015B8C: D10000FC 00B2813A
	v_cndmask_b32_e64 v253, v65, v58, s[44:45]                 // 000000015B94: D10000FD 00B27541
	v_mov_b32_dpp v64, v252 row_shr:8 row_mask:0xf bank_mask:0xf// 000000015B9C: 7E8002FA FF0118FC
	v_mov_b32_dpp v65, v252 row_shl:8 row_mask:0xf bank_mask:0xf// 000000015BA4: 7E8202FA FF0108FC
	v_mov_b32_dpp v66, v253 row_shr:8 row_mask:0xf bank_mask:0xf// 000000015BAC: 7E8402FA FF0118FD
	v_mov_b32_dpp v67, v253 row_shl:8 row_mask:0xf bank_mask:0xf// 000000015BB4: 7E8602FA FF0108FD
	v_mov_b32_e32 v68, v252                                    // 000000015BBC: 7E8803FC
	v_mov_b32_e32 v69, v253                                    // 000000015BC0: 7E8A03FD
	v_cndmask_b32_e64 v252, v68, v64, s[42:43]                 // 000000015BC4: D10000FC 00AA8144
	v_cndmask_b32_e64 v254, v68, v65, s[78:79]                 // 000000015BCC: D10000FE 013A8344
	v_cndmask_b32_e64 v253, v69, v66, s[42:43]                 // 000000015BD4: D10000FD 00AA8545
	v_cndmask_b32_e64 v255, v69, v67, s[78:79]                 // 000000015BDC: D10000FF 013A8745
	v_cvt_f32_i32_e32 v144, v144                               // 000000015BE4: 7F200B90
	v_cvt_f32_i32_e32 v145, v145                               // 000000015BE8: 7F220B91
	v_cvt_f32_i32_e32 v146, v146                               // 000000015BEC: 7F240B92
	v_cvt_f32_i32_e32 v147, v147                               // 000000015BF0: 7F260B93
	v_cvt_f32_i32_e32 v148, v148                               // 000000015BF4: 7F280B94
	v_cvt_f32_i32_e32 v149, v149                               // 000000015BF8: 7F2A0B95
	v_cvt_f32_i32_e32 v150, v150                               // 000000015BFC: 7F2C0B96
	v_cvt_f32_i32_e32 v151, v151                               // 000000015C00: 7F2E0B97
	v_cvt_f32_i32_e32 v152, v152                               // 000000015C04: 7F300B98
	v_cvt_f32_i32_e32 v153, v153                               // 000000015C08: 7F320B99
	v_cvt_f32_i32_e32 v154, v154                               // 000000015C0C: 7F340B9A
	v_cvt_f32_i32_e32 v155, v155                               // 000000015C10: 7F360B9B
	v_cvt_f32_i32_e32 v156, v156                               // 000000015C14: 7F380B9C
	v_cvt_f32_i32_e32 v157, v157                               // 000000015C18: 7F3A0B9D
	v_cvt_f32_i32_e32 v158, v158                               // 000000015C1C: 7F3C0B9E
	v_cvt_f32_i32_e32 v159, v159                               // 000000015C20: 7F3E0B9F
	v_mul_f32_e32 v144, v20, v144                              // 000000015C24: 0B212114
	v_mul_f32_e32 v145, v20, v145                              // 000000015C28: 0B232314
	v_mul_f32_e32 v146, v20, v146                              // 000000015C2C: 0B252514
	v_mul_f32_e32 v147, v20, v147                              // 000000015C30: 0B272714
	v_mul_f32_e32 v148, v20, v148                              // 000000015C34: 0B292914
	v_mul_f32_e32 v149, v20, v149                              // 000000015C38: 0B2B2B14
	v_mul_f32_e32 v150, v20, v150                              // 000000015C3C: 0B2D2D14
	v_mul_f32_e32 v151, v20, v151                              // 000000015C40: 0B2F2F14
	v_mul_f32_e32 v152, v20, v152                              // 000000015C44: 0B313114
	v_mul_f32_e32 v153, v20, v153                              // 000000015C48: 0B333314
	v_mul_f32_e32 v154, v20, v154                              // 000000015C4C: 0B353514
	v_mul_f32_e32 v155, v20, v155                              // 000000015C50: 0B373714
	v_mul_f32_e32 v156, v20, v156                              // 000000015C54: 0B393914
	v_mul_f32_e32 v157, v20, v157                              // 000000015C58: 0B3B3B14
	v_mul_f32_e32 v158, v20, v158                              // 000000015C5C: 0B3D3D14
	v_mul_f32_e32 v159, v20, v159                              // 000000015C60: 0B3F3F14
	v_mul_f32_dpp v144, v248, v144 quad_perm:[0,0,0,0] row_mask:0xf bank_mask:0xf// 000000015C64: 0B2120FA FF0000F8
	v_mul_f32_dpp v145, v248, v145 quad_perm:[1,1,1,1] row_mask:0xf bank_mask:0xf// 000000015C6C: 0B2322FA FF0055F8
	v_mul_f32_dpp v146, v248, v146 quad_perm:[2,2,2,2] row_mask:0xf bank_mask:0xf// 000000015C74: 0B2524FA FF00AAF8
	v_mul_f32_dpp v147, v248, v147 quad_perm:[3,3,3,3] row_mask:0xf bank_mask:0xf// 000000015C7C: 0B2726FA FF00FFF8
	v_mul_f32_dpp v148, v249, v148 quad_perm:[0,0,0,0] row_mask:0xf bank_mask:0xf// 000000015C84: 0B2928FA FF0000F9
	v_mul_f32_dpp v149, v249, v149 quad_perm:[1,1,1,1] row_mask:0xf bank_mask:0xf// 000000015C8C: 0B2B2AFA FF0055F9
	v_mul_f32_dpp v150, v249, v150 quad_perm:[2,2,2,2] row_mask:0xf bank_mask:0xf// 000000015C94: 0B2D2CFA FF00AAF9
	v_mul_f32_dpp v151, v249, v151 quad_perm:[3,3,3,3] row_mask:0xf bank_mask:0xf// 000000015C9C: 0B2F2EFA FF00FFF9
	v_mul_f32_dpp v152, v250, v152 quad_perm:[0,0,0,0] row_mask:0xf bank_mask:0xf// 000000015CA4: 0B3130FA FF0000FA
	v_mul_f32_dpp v153, v250, v153 quad_perm:[1,1,1,1] row_mask:0xf bank_mask:0xf// 000000015CAC: 0B3332FA FF0055FA
	v_mul_f32_dpp v154, v250, v154 quad_perm:[2,2,2,2] row_mask:0xf bank_mask:0xf// 000000015CB4: 0B3534FA FF00AAFA
	v_mul_f32_dpp v155, v250, v155 quad_perm:[3,3,3,3] row_mask:0xf bank_mask:0xf// 000000015CBC: 0B3736FA FF00FFFA
	v_mul_f32_dpp v156, v251, v156 quad_perm:[0,0,0,0] row_mask:0xf bank_mask:0xf// 000000015CC4: 0B3938FA FF0000FB
	v_mul_f32_dpp v157, v251, v157 quad_perm:[1,1,1,1] row_mask:0xf bank_mask:0xf// 000000015CCC: 0B3B3AFA FF0055FB
	v_mul_f32_dpp v158, v251, v158 quad_perm:[2,2,2,2] row_mask:0xf bank_mask:0xf// 000000015CD4: 0B3D3CFA FF00AAFB
	v_mul_f32_dpp v159, v251, v159 quad_perm:[3,3,3,3] row_mask:0xf bank_mask:0xf// 000000015CDC: 0B3F3EFA FF00FFFB
	v_mov_b32_e32 v48, v144                                    // 000000015CE4: 7E600390
	v_max3_f32 v48, v144, v145, v48                            // 000000015CE8: D1D30030 04C32390
	v_max3_f32 v48, v146, v147, v48                            // 000000015CF0: D1D30030 04C32792
	v_max3_f32 v48, v148, v149, v48                            // 000000015CF8: D1D30030 04C32B94
	v_max3_f32 v48, v150, v151, v48                            // 000000015D00: D1D30030 04C32F96
	v_max3_f32 v48, v152, v153, v48                            // 000000015D08: D1D30030 04C33398
	v_max3_f32 v48, v154, v155, v48                            // 000000015D10: D1D30030 04C3379A
	v_max3_f32 v48, v156, v157, v48                            // 000000015D18: D1D30030 04C33B9C
	v_max3_f32 v48, v158, v159, v48                            // 000000015D20: D1D30030 04C33F9E
	ds_write_b32 v8, v48 offset:16896                          // 000000015D28: D81A4200 00003008
	v_mul_f32_e32 v224, v51, v224                              // 000000015D30: 0BC1C133
	v_mul_f32_e32 v225, v51, v225                              // 000000015D34: 0BC3C333
	v_mul_f32_e32 v226, v51, v226                              // 000000015D38: 0BC5C533
	v_mul_f32_e32 v227, v51, v227                              // 000000015D3C: 0BC7C733
	v_mul_f32_e32 v228, v51, v228                              // 000000015D40: 0BC9C933
	v_mul_f32_e32 v229, v51, v229                              // 000000015D44: 0BCBCB33
	v_mul_f32_e32 v230, v51, v230                              // 000000015D48: 0BCDCD33
	v_mul_f32_e32 v231, v51, v231                              // 000000015D4C: 0BCFCF33
	s_waitcnt lgkmcnt(0)                                       // 000000015D50: BF8CC07F
	s_barrier                                                  // 000000015D54: BF8A0000
	ds_read_b32 v64, v7 offset:16896                           // 000000015D58: D86C4200 40000007
	ds_read_b32 v65, v7 offset:16960                           // 000000015D60: D86C4240 41000007
	ds_read_b32 v66, v7 offset:17024                           // 000000015D68: D86C4280 42000007
	ds_read_b32 v67, v7 offset:17088                           // 000000015D70: D86C42C0 43000007
	ds_read_b32 v68, v7 offset:17152                           // 000000015D78: D86C4300 44000007
	ds_read_b32 v69, v7 offset:17216                           // 000000015D80: D86C4340 45000007
	ds_read_b32 v70, v7 offset:17280                           // 000000015D88: D86C4380 46000007
	ds_read_b32 v71, v7 offset:17344                           // 000000015D90: D86C43C0 47000007
	ds_read_b32 v72, v7 offset:17408                           // 000000015D98: D86C4400 48000007
	ds_read_b32 v73, v7 offset:17472                           // 000000015DA0: D86C4440 49000007
	ds_read_b32 v74, v7 offset:17536                           // 000000015DA8: D86C4480 4A000007
	ds_read_b32 v75, v7 offset:17600                           // 000000015DB0: D86C44C0 4B000007
	ds_read_b32 v76, v7 offset:17664                           // 000000015DB8: D86C4500 4C000007
	ds_read_b32 v77, v7 offset:17728                           // 000000015DC0: D86C4540 4D000007
	ds_read_b32 v78, v7 offset:17792                           // 000000015DC8: D86C4580 4E000007
	ds_read_b32 v79, v7 offset:17856                           // 000000015DD0: D86C45C0 4F000007
	v_cvt_f32_i32_e32 v192, v192                               // 000000015DD8: 7F800BC0
	v_cvt_f32_i32_e32 v193, v193                               // 000000015DDC: 7F820BC1
	v_cvt_f32_i32_e32 v194, v194                               // 000000015DE0: 7F840BC2
	v_cvt_f32_i32_e32 v195, v195                               // 000000015DE4: 7F860BC3
	v_cvt_f32_i32_e32 v196, v196                               // 000000015DE8: 7F880BC4
	v_cvt_f32_i32_e32 v197, v197                               // 000000015DEC: 7F8A0BC5
	v_cvt_f32_i32_e32 v198, v198                               // 000000015DF0: 7F8C0BC6
	v_cvt_f32_i32_e32 v199, v199                               // 000000015DF4: 7F8E0BC7
	v_mul_f32_e32 v192, v46, v192                              // 000000015DF8: 0B81812E
	v_mul_f32_e32 v193, v46, v193                              // 000000015DFC: 0B83832E
	v_mul_f32_e32 v194, v46, v194                              // 000000015E00: 0B85852E
	v_mul_f32_e32 v195, v46, v195                              // 000000015E04: 0B87872E
	v_mul_f32_e32 v196, v46, v196                              // 000000015E08: 0B89892E
	v_mul_f32_e32 v197, v46, v197                              // 000000015E0C: 0B8B8B2E
	v_mul_f32_e32 v198, v46, v198                              // 000000015E10: 0B8D8D2E
	v_mul_f32_e32 v199, v46, v199                              // 000000015E14: 0B8F8F2E
	s_waitcnt lgkmcnt(0)                                       // 000000015E18: BF8CC07F
	v_max3_f32 v48, v64, v65, v48                              // 000000015E1C: D1D30030 04C28340
	v_max3_f32 v48, v66, v67, v48                              // 000000015E24: D1D30030 04C28742
	v_max3_f32 v48, v68, v69, v48                              // 000000015E2C: D1D30030 04C28B44
	v_max3_f32 v48, v70, v71, v48                              // 000000015E34: D1D30030 04C28F46
	v_max3_f32 v48, v72, v73, v48                              // 000000015E3C: D1D30030 04C29348
	v_max3_f32 v48, v74, v75, v48                              // 000000015E44: D1D30030 04C2974A
	v_max3_f32 v48, v76, v77, v48                              // 000000015E4C: D1D30030 04C29B4C
	v_max3_f32 v48, v78, v79, v48                              // 000000015E54: D1D30030 04C29F4E
	v_mov_b32_e32 v64, 0xff800000                              // 000000015E5C: 7E8002FF FF800000
	v_cmp_eq_u32_e64 s[40:41], v64, v13                        // 000000015E64: D0CA0028 00021B40
	s_nop 1                                                    // 000000015E6C: BF800001
	v_max_f32_e32 v15, v48, v13                                // 000000015E70: 161E1B30
	v_mul_f32_e32 v53, s64, v15                                // 000000015E74: 0A6A1E40
	v_fma_f32 v144, v144, s64, -v53                            // 000000015E78: D1CB0090 84D48190
	v_fma_f32 v145, v145, s64, -v53                            // 000000015E80: D1CB0091 84D48191
	v_fma_f32 v146, v146, s64, -v53                            // 000000015E88: D1CB0092 84D48192
	v_fma_f32 v147, v147, s64, -v53                            // 000000015E90: D1CB0093 84D48193
	v_fma_f32 v148, v148, s64, -v53                            // 000000015E98: D1CB0094 84D48194
	v_fma_f32 v149, v149, s64, -v53                            // 000000015EA0: D1CB0095 84D48195
	v_fma_f32 v150, v150, s64, -v53                            // 000000015EA8: D1CB0096 84D48196
	v_fma_f32 v151, v151, s64, -v53                            // 000000015EB0: D1CB0097 84D48197
	v_fma_f32 v152, v152, s64, -v53                            // 000000015EB8: D1CB0098 84D48198
	v_fma_f32 v153, v153, s64, -v53                            // 000000015EC0: D1CB0099 84D48199
	v_fma_f32 v154, v154, s64, -v53                            // 000000015EC8: D1CB009A 84D4819A
	v_fma_f32 v155, v155, s64, -v53                            // 000000015ED0: D1CB009B 84D4819B
	v_fma_f32 v156, v156, s64, -v53                            // 000000015ED8: D1CB009C 84D4819C
	v_fma_f32 v157, v157, s64, -v53                            // 000000015EE0: D1CB009D 84D4819D
	v_fma_f32 v158, v158, s64, -v53                            // 000000015EE8: D1CB009E 84D4819E
	v_fma_f32 v159, v159, s64, -v53                            // 000000015EF0: D1CB009F 84D4819F
	v_exp_f32_e32 v144, v144                                   // 000000015EF8: 7F204190
	v_exp_f32_e32 v145, v145                                   // 000000015EFC: 7F224191
	v_exp_f32_e32 v146, v146                                   // 000000015F00: 7F244192
	v_exp_f32_e32 v147, v147                                   // 000000015F04: 7F264193
	v_exp_f32_e32 v148, v148                                   // 000000015F08: 7F284194
	v_exp_f32_e32 v149, v149                                   // 000000015F0C: 7F2A4195
	v_exp_f32_e32 v150, v150                                   // 000000015F10: 7F2C4196
	v_exp_f32_e32 v151, v151                                   // 000000015F14: 7F2E4197
	v_exp_f32_e32 v152, v152                                   // 000000015F18: 7F304198
	v_exp_f32_e32 v153, v153                                   // 000000015F1C: 7F324199
	v_exp_f32_e32 v154, v154                                   // 000000015F20: 7F34419A
	v_exp_f32_e32 v155, v155                                   // 000000015F24: 7F36419B
	v_exp_f32_e32 v156, v156                                   // 000000015F28: 7F38419C
	v_exp_f32_e32 v157, v157                                   // 000000015F2C: 7F3A419D
	v_exp_f32_e32 v158, v158                                   // 000000015F30: 7F3C419E
	v_exp_f32_e32 v159, v159                                   // 000000015F34: 7F3E419F
	v_mul_f32_dpp v240, v252, v144 quad_perm:[0,0,0,0] row_mask:0xf bank_mask:0xf// 000000015F38: 0BE120FA FF0000FC
	v_mul_f32_dpp v241, v252, v145 quad_perm:[1,1,1,1] row_mask:0xf bank_mask:0xf// 000000015F40: 0BE322FA FF0055FC
	v_mul_f32_dpp v242, v252, v146 quad_perm:[2,2,2,2] row_mask:0xf bank_mask:0xf// 000000015F48: 0BE524FA FF00AAFC
	v_mul_f32_dpp v243, v252, v147 quad_perm:[3,3,3,3] row_mask:0xf bank_mask:0xf// 000000015F50: 0BE726FA FF00FFFC
	v_mul_f32_dpp v244, v253, v148 quad_perm:[0,0,0,0] row_mask:0xf bank_mask:0xf// 000000015F58: 0BE928FA FF0000FD
	v_mul_f32_dpp v245, v253, v149 quad_perm:[1,1,1,1] row_mask:0xf bank_mask:0xf// 000000015F60: 0BEB2AFA FF0055FD
	v_mul_f32_dpp v246, v253, v150 quad_perm:[2,2,2,2] row_mask:0xf bank_mask:0xf// 000000015F68: 0BED2CFA FF00AAFD
	v_mul_f32_dpp v247, v253, v151 quad_perm:[3,3,3,3] row_mask:0xf bank_mask:0xf// 000000015F70: 0BEF2EFA FF00FFFD
	v_mul_f32_dpp v248, v254, v152 quad_perm:[0,0,0,0] row_mask:0xf bank_mask:0xf// 000000015F78: 0BF130FA FF0000FE
	v_mul_f32_dpp v249, v254, v153 quad_perm:[1,1,1,1] row_mask:0xf bank_mask:0xf// 000000015F80: 0BF332FA FF0055FE
	v_mul_f32_dpp v250, v254, v154 quad_perm:[2,2,2,2] row_mask:0xf bank_mask:0xf// 000000015F88: 0BF534FA FF00AAFE
	v_mul_f32_dpp v251, v254, v155 quad_perm:[3,3,3,3] row_mask:0xf bank_mask:0xf// 000000015F90: 0BF736FA FF00FFFE
	v_mul_f32_dpp v252, v255, v156 quad_perm:[0,0,0,0] row_mask:0xf bank_mask:0xf// 000000015F98: 0BF938FA FF0000FF
	v_mul_f32_dpp v253, v255, v157 quad_perm:[1,1,1,1] row_mask:0xf bank_mask:0xf// 000000015FA0: 0BFB3AFA FF0055FF
	v_mul_f32_dpp v254, v255, v158 quad_perm:[2,2,2,2] row_mask:0xf bank_mask:0xf// 000000015FA8: 0BFD3CFA FF00AAFF
	v_mul_f32_dpp v255, v255, v159 quad_perm:[3,3,3,3] row_mask:0xf bank_mask:0xf// 000000015FB0: 0BFF3EFA FF00FFFF
	v_mov_b32_e32 v48, 0x358637bd                              // 000000015FB8: 7E6002FF 358637BD
	v_max3_f32 v48, |v240|, |v241|, v48                        // 000000015FC0: D1D30330 04C3E3F0
	v_max3_f32 v48, |v242|, |v243|, v48                        // 000000015FC8: D1D30330 04C3E7F2
	v_max3_f32 v48, |v244|, |v245|, v48                        // 000000015FD0: D1D30330 04C3EBF4
	v_max3_f32 v48, |v246|, |v247|, v48                        // 000000015FD8: D1D30330 04C3EFF6
	v_max3_f32 v48, |v248|, |v249|, v48                        // 000000015FE0: D1D30330 04C3F3F8
	v_max3_f32 v48, |v250|, |v251|, v48                        // 000000015FE8: D1D30330 04C3F7FA
	v_max3_f32 v48, |v252|, |v253|, v48                        // 000000015FF0: D1D30330 04C3FBFC
	v_max3_f32 v48, |v254|, |v255|, v48                        // 000000015FF8: D1D30330 04C3FFFE
	ds_write_b32 v8, v48 offset:20992                          // 000000016000: D81A5200 00003008
	v_sub_f32_e32 v51, v13, v15                                // 000000016008: 04661F0D
	v_cndmask_b32_e64 v51, v51, 0, s[40:41]                    // 00000001600C: D1000033 00A10133
	v_mov_b32_e32 v13, v15                                     // 000000016014: 7E1A030F
	v_mul_f32_e32 v51, s64, v51                                // 000000016018: 0A666640
	v_exp_f32_e32 v51, v51                                     // 00000001601C: 7E664133
	s_waitcnt lgkmcnt(0)                                       // 000000016020: BF8CC07F
	s_barrier                                                  // 000000016024: BF8A0000
	ds_read_b32 v64, v7 offset:20992                           // 000000016028: D86C5200 40000007
	ds_read_b32 v65, v7 offset:21056                           // 000000016030: D86C5240 41000007
	ds_read_b32 v66, v7 offset:21120                           // 000000016038: D86C5280 42000007
	ds_read_b32 v67, v7 offset:21184                           // 000000016040: D86C52C0 43000007
	ds_read_b32 v68, v7 offset:21248                           // 000000016048: D86C5300 44000007
	ds_read_b32 v69, v7 offset:21312                           // 000000016050: D86C5340 45000007
	ds_read_b32 v70, v7 offset:21376                           // 000000016058: D86C5380 46000007
	ds_read_b32 v71, v7 offset:21440                           // 000000016060: D86C53C0 47000007
	ds_read_b32 v72, v7 offset:21504                           // 000000016068: D86C5400 48000007
	ds_read_b32 v73, v7 offset:21568                           // 000000016070: D86C5440 49000007
	ds_read_b32 v74, v7 offset:21632                           // 000000016078: D86C5480 4A000007
	ds_read_b32 v75, v7 offset:21696                           // 000000016080: D86C54C0 4B000007
	ds_read_b32 v76, v7 offset:21760                           // 000000016088: D86C5500 4C000007
	ds_read_b32 v77, v7 offset:21824                           // 000000016090: D86C5540 4D000007
	ds_read_b32 v78, v7 offset:21888                           // 000000016098: D86C5580 4E000007
	ds_read_b32 v79, v7 offset:21952                           // 0000000160A0: D86C55C0 4F000007
	v_mul_f32_e32 v40, v51, v40                                // 0000000160A8: 0A505133
	v_mov_b32_e32 v15, v144                                    // 0000000160AC: 7E1E0390
	v_add_f32_e32 v15, v145, v15                               // 0000000160B0: 021E1F91
	v_add_f32_e32 v15, v146, v15                               // 0000000160B4: 021E1F92
	v_add_f32_e32 v15, v147, v15                               // 0000000160B8: 021E1F93
	v_add_f32_e32 v15, v148, v15                               // 0000000160BC: 021E1F94
	v_add_f32_e32 v15, v149, v15                               // 0000000160C0: 021E1F95
	v_add_f32_e32 v15, v150, v15                               // 0000000160C4: 021E1F96
	v_add_f32_e32 v15, v151, v15                               // 0000000160C8: 021E1F97
	v_add_f32_e32 v15, v152, v15                               // 0000000160CC: 021E1F98
	v_add_f32_e32 v15, v153, v15                               // 0000000160D0: 021E1F99
	v_add_f32_e32 v15, v154, v15                               // 0000000160D4: 021E1F9A
	v_add_f32_e32 v15, v155, v15                               // 0000000160D8: 021E1F9B
	v_add_f32_e32 v15, v156, v15                               // 0000000160DC: 021E1F9C
	v_add_f32_e32 v15, v157, v15                               // 0000000160E0: 021E1F9D
	v_add_f32_e32 v15, v158, v15                               // 0000000160E4: 021E1F9E
	v_add_f32_e32 v15, v159, v15                               // 0000000160E8: 021E1F9F
	v_add_f32_e32 v40, v15, v40                                // 0000000160EC: 0250510F
	s_waitcnt lgkmcnt(0)                                       // 0000000160F0: BF8CC07F
	v_max3_f32 v48, |v64|, |v65|, v48                          // 0000000160F4: D1D30330 04C28340
	v_max3_f32 v48, |v66|, |v67|, v48                          // 0000000160FC: D1D30330 04C28742
	v_max3_f32 v48, |v68|, |v69|, v48                          // 000000016104: D1D30330 04C28B44
	v_max3_f32 v48, |v70|, |v71|, v48                          // 00000001610C: D1D30330 04C28F46
	v_max3_f32 v48, |v72|, |v73|, v48                          // 000000016114: D1D30330 04C29348
	v_max3_f32 v48, |v74|, |v75|, v48                          // 00000001611C: D1D30330 04C2974A
	v_max3_f32 v48, |v76|, |v77|, v48                          // 000000016124: D1D30330 04C29B4C
	v_max3_f32 v48, |v78|, |v79|, v48                          // 00000001612C: D1D30330 04C29F4E
	s_nop 2                                                    // 000000016134: BF800002
	v_rcp_f32_e32 v48, v48                                     // 000000016138: 7E604530
	s_nop 1                                                    // 00000001613C: BF800001
	v_mul_f32_e32 v48, 0x42fe0000, v48                         // 000000016140: 0A6060FF 42FE0000
	v_mul_f32_e32 v144, v48, v240                              // 000000016148: 0B21E130
	v_mul_f32_e32 v145, v48, v241                              // 00000001614C: 0B23E330
	v_mul_f32_e32 v146, v48, v242                              // 000000016150: 0B25E530
	v_mul_f32_e32 v147, v48, v243                              // 000000016154: 0B27E730
	v_mul_f32_e32 v148, v48, v244                              // 000000016158: 0B29E930
	v_mul_f32_e32 v149, v48, v245                              // 00000001615C: 0B2BEB30
	v_mul_f32_e32 v150, v48, v246                              // 000000016160: 0B2DED30
	v_mul_f32_e32 v151, v48, v247                              // 000000016164: 0B2FEF30
	v_mul_f32_e32 v152, v48, v248                              // 000000016168: 0B31F130
	v_mul_f32_e32 v153, v48, v249                              // 00000001616C: 0B33F330
	v_mul_f32_e32 v154, v48, v250                              // 000000016170: 0B35F530
	v_mul_f32_e32 v155, v48, v251                              // 000000016174: 0B37F730
	v_mul_f32_e32 v156, v48, v252                              // 000000016178: 0B39F930
	v_mul_f32_e32 v157, v48, v253                              // 00000001617C: 0B3BFB30
	v_mul_f32_e32 v158, v48, v254                              // 000000016180: 0B3DFD30
	v_mul_f32_e32 v159, v48, v255                              // 000000016184: 0B3FFF30
	v_cvt_i32_f32_e32 v144, v144                               // 000000016188: 7F201190
	v_cvt_i32_f32_e32 v145, v145                               // 00000001618C: 7F221191
	v_cvt_i32_f32_e32 v146, v146                               // 000000016190: 7F241192
	v_cvt_i32_f32_e32 v147, v147                               // 000000016194: 7F261193
	v_cvt_i32_f32_e32 v148, v148                               // 000000016198: 7F281194
	v_cvt_i32_f32_e32 v149, v149                               // 00000001619C: 7F2A1195
	v_cvt_i32_f32_e32 v150, v150                               // 0000000161A0: 7F2C1196
	v_cvt_i32_f32_e32 v151, v151                               // 0000000161A4: 7F2E1197
	v_cvt_i32_f32_e32 v152, v152                               // 0000000161A8: 7F301198
	v_cvt_i32_f32_e32 v153, v153                               // 0000000161AC: 7F321199
	v_cvt_i32_f32_e32 v154, v154                               // 0000000161B0: 7F34119A
	v_cvt_i32_f32_e32 v155, v155                               // 0000000161B4: 7F36119B
	v_cvt_i32_f32_e32 v156, v156                               // 0000000161B8: 7F38119C
	v_cvt_i32_f32_e32 v157, v157                               // 0000000161BC: 7F3A119D
	v_cvt_i32_f32_e32 v158, v158                               // 0000000161C0: 7F3C119E
	v_cvt_i32_f32_e32 v159, v159                               // 0000000161C4: 7F3E119F
	v_perm_b32 v144, v145, v144, s53                           // 0000000161C8: D1ED0090 00D72191
	v_perm_b32 v144, v146, v144, s54                           // 0000000161D0: D1ED0090 00DB2192
	v_perm_b32 v144, v147, v144, s55                           // 0000000161D8: D1ED0090 00DF2193
	v_perm_b32 v145, v149, v148, s53                           // 0000000161E0: D1ED0091 00D72995
	v_perm_b32 v145, v150, v145, s54                           // 0000000161E8: D1ED0091 00DB2396
	v_perm_b32 v145, v151, v145, s55                           // 0000000161F0: D1ED0091 00DF2397
	v_perm_b32 v146, v153, v152, s53                           // 0000000161F8: D1ED0092 00D73199
	v_perm_b32 v146, v154, v146, s54                           // 000000016200: D1ED0092 00DB259A
	v_perm_b32 v146, v155, v146, s55                           // 000000016208: D1ED0092 00DF259B
	v_perm_b32 v147, v157, v156, s53                           // 000000016210: D1ED0093 00D7399D
	v_perm_b32 v147, v158, v147, s54                           // 000000016218: D1ED0093 00DB279E
	v_perm_b32 v147, v159, v147, s55                           // 000000016220: D1ED0093 00DF279F
	ds_write_b32 v10, v144 offset:33280                        // 000000016228: D81A8200 0000900A
	ds_write_b32 v10, v145 offset:34304                        // 000000016230: D81A8600 0000910A
	ds_write_b32 v10, v146 offset:35328                        // 000000016238: D81A8A00 0000920A
	ds_write_b32 v10, v147 offset:36352                        // 000000016240: D81A8E00 0000930A
	v_add_f32_e32 v224, v224, v192                             // 000000016248: 03C181E0
	v_add_f32_e32 v225, v225, v193                             // 00000001624C: 03C383E1
	v_add_f32_e32 v226, v226, v194                             // 000000016250: 03C585E2
	v_add_f32_e32 v227, v227, v195                             // 000000016254: 03C787E3
	v_add_f32_e32 v228, v228, v196                             // 000000016258: 03C989E4
	v_add_f32_e32 v229, v229, v197                             // 00000001625C: 03CB8BE5
	v_add_f32_e32 v230, v230, v198                             // 000000016260: 03CD8DE6
	v_add_f32_e32 v231, v231, v199                             // 000000016264: 03CF8FE7
	v_rcp_f32_e32 v46, v48                                     // 000000016268: 7E5C4530
	s_waitcnt lgkmcnt(0)                                       // 00000001626C: BF8CC07F
	s_barrier                                                  // 000000016270: BF8A0000
	ds_read_b64 v[144:145], v9 offset:33280                    // 000000016274: D8EC8200 90000009
	ds_read_b64 v[146:147], v9 offset:33408                    // 00000001627C: D8EC8280 92000009
	ds_read_b64 v[148:149], v9 offset:34304                    // 000000016284: D8EC8600 94000009
	ds_read_b64 v[150:151], v9 offset:34432                    // 00000001628C: D8EC8680 96000009
	ds_read_b64 v[152:153], v9 offset:35328                    // 000000016294: D8EC8A00 98000009
	ds_read_b64 v[154:155], v9 offset:35456                    // 00000001629C: D8EC8A80 9A000009
	ds_read_b64 v[156:157], v9 offset:36352                    // 0000000162A4: D8EC8E00 9C000009
	ds_read_b64 v[158:159], v9 offset:36480                    // 0000000162AC: D8EC8E80 9E000009
	s_waitcnt vmcnt(15)                                        // 0000000162B4: BF8C0F7F
	v_mfma_i32_16x16x32_i8 v[176:179], a[96:97], v[112:113], 0 // 0000000162B8: D3D700B0 0A02E160
	buffer_load_dwordx4 a[80:83], v30, s[20:23], 0 offen offset:1024// 0000000162C0: E05C1400 8085501E
	v_mfma_i32_16x16x32_i8 v[176:179], a[98:99], v[114:115], v[176:179]// 0000000162C8: D3D700B0 0EC2E562
	v_mfma_i32_16x16x32_i8 v[176:179], a[100:101], v[116:117], v[176:179]// 0000000162D0: D3D700B0 0EC2E964
	v_mfma_i32_16x16x32_i8 v[176:179], a[102:103], v[118:119], v[176:179]// 0000000162D8: D3D700B0 0EC2ED66
	v_mfma_i32_16x16x32_i8 v[176:179], a[104:105], v[120:121], v[176:179]// 0000000162E0: D3D700B0 0EC2F168
	buffer_load_dwordx4 a[84:87], v31, s[20:23], 0 offen offset:1024// 0000000162E8: E05C1400 8085541F
	v_mfma_i32_16x16x32_i8 v[176:179], a[106:107], v[122:123], v[176:179]// 0000000162F0: D3D700B0 0EC2F56A
	v_mfma_i32_16x16x32_i8 v[176:179], a[108:109], v[124:125], v[176:179]// 0000000162F8: D3D700B0 0EC2F96C
	v_mfma_i32_16x16x32_i8 v[176:179], a[110:111], v[126:127], v[176:179]// 000000016300: D3D700B0 0EC2FD6E
	v_mfma_i32_16x16x32_i8 v[180:183], a[112:113], v[112:113], 0// 000000016308: D3D700B4 0A02E170
	buffer_load_dwordx4 a[88:91], v32, s[20:23], 0 offen offset:1024// 000000016310: E05C1400 80855820
	v_mfma_i32_16x16x32_i8 v[180:183], a[114:115], v[114:115], v[180:183]// 000000016318: D3D700B4 0ED2E572
	v_mfma_i32_16x16x32_i8 v[180:183], a[116:117], v[116:117], v[180:183]// 000000016320: D3D700B4 0ED2E974
	v_mfma_i32_16x16x32_i8 v[180:183], a[118:119], v[118:119], v[180:183]// 000000016328: D3D700B4 0ED2ED76
	v_mfma_i32_16x16x32_i8 v[180:183], a[120:121], v[120:121], v[180:183]// 000000016330: D3D700B4 0ED2F178
	buffer_load_dwordx4 a[92:95], v33, s[20:23], 0 offen offset:1024// 000000016338: E05C1400 80855C21
	v_mfma_i32_16x16x32_i8 v[180:183], a[122:123], v[122:123], v[180:183]// 000000016340: D3D700B4 0ED2F57A
	v_mfma_i32_16x16x32_i8 v[180:183], a[124:125], v[124:125], v[180:183]// 000000016348: D3D700B4 0ED2F97C
	s_lshr_b32 s57, s70, 4                                     // 000000016350: 8F398446
	s_add_u32 s57, 48, s57                                     // 000000016354: 803939B0
	v_mfma_i32_16x16x32_i8 v[180:183], a[126:127], v[126:127], v[180:183]// 000000016358: D3D700B4 0ED2FD7E
	s_cmp_ge_u32 s57, s73                                      // 000000016360: BF094939
	s_cselect_b32 s56, 0, s56                                  // 000000016364: 85383880
	v_mfma_i32_16x16x32_i8 v[184:187], a[96:97], v[128:129], 0 // 000000016368: D3D700B8 0A030160
	v_mfma_i32_16x16x32_i8 v[184:187], a[98:99], v[130:131], v[184:187]// 000000016370: D3D700B8 0EE30562
	v_mfma_i32_16x16x32_i8 v[184:187], a[100:101], v[132:133], v[184:187]// 000000016378: D3D700B8 0EE30964
	v_mfma_i32_16x16x32_i8 v[184:187], a[102:103], v[134:135], v[184:187]// 000000016380: D3D700B8 0EE30D66
	v_mfma_i32_16x16x32_i8 v[184:187], a[104:105], v[136:137], v[184:187]// 000000016388: D3D700B8 0EE31168
	v_mfma_i32_16x16x32_i8 v[184:187], a[106:107], v[138:139], v[184:187]// 000000016390: D3D700B8 0EE3156A
	v_mfma_i32_16x16x32_i8 v[184:187], a[108:109], v[140:141], v[184:187]// 000000016398: D3D700B8 0EE3196C
	v_mfma_i32_16x16x32_i8 v[184:187], a[110:111], v[142:143], v[184:187]// 0000000163A0: D3D700B8 0EE31D6E
	v_mfma_i32_16x16x32_i8 v[188:191], a[112:113], v[128:129], 0// 0000000163A8: D3D700BC 0A030170
	v_mfma_i32_16x16x32_i8 v[188:191], a[114:115], v[130:131], v[188:191]// 0000000163B0: D3D700BC 0EF30572
	v_mfma_i32_16x16x32_i8 v[188:191], a[116:117], v[132:133], v[188:191]// 0000000163B8: D3D700BC 0EF30974
	v_mfma_i32_16x16x32_i8 v[188:191], a[118:119], v[134:135], v[188:191]// 0000000163C0: D3D700BC 0EF30D76
	v_mfma_i32_16x16x32_i8 v[188:191], a[120:121], v[136:137], v[188:191]// 0000000163C8: D3D700BC 0EF31178
	v_mfma_i32_16x16x32_i8 v[188:191], a[122:123], v[138:139], v[188:191]// 0000000163D0: D3D700BC 0EF3157A
	v_mfma_i32_16x16x32_i8 v[188:191], a[124:125], v[140:141], v[188:191]// 0000000163D8: D3D700BC 0EF3197C
	v_mfma_i32_16x16x32_i8 v[188:191], a[126:127], v[142:143], v[188:191]// 0000000163E0: D3D700BC 0EF31D7E
	v_mfma_i32_16x16x32_i8 v[192:195], a[96:97], v[144:145], 0 // 0000000163E8: D3D700C0 0A032160
	v_mfma_i32_16x16x32_i8 v[192:195], a[98:99], v[146:147], v[192:195]// 0000000163F0: D3D700C0 0F032562
	v_mfma_i32_16x16x32_i8 v[192:195], a[100:101], v[148:149], v[192:195]// 0000000163F8: D3D700C0 0F032964
	v_mfma_i32_16x16x32_i8 v[192:195], a[102:103], v[150:151], v[192:195]// 000000016400: D3D700C0 0F032D66
	v_mfma_i32_16x16x32_i8 v[192:195], a[104:105], v[152:153], v[192:195]// 000000016408: D3D700C0 0F033168
	v_mfma_i32_16x16x32_i8 v[192:195], a[106:107], v[154:155], v[192:195]// 000000016410: D3D700C0 0F03356A
	v_mfma_i32_16x16x32_i8 v[192:195], a[108:109], v[156:157], v[192:195]// 000000016418: D3D700C0 0F03396C
	v_mfma_i32_16x16x32_i8 v[192:195], a[110:111], v[158:159], v[192:195]// 000000016420: D3D700C0 0F033D6E
	v_mfma_i32_16x16x32_i8 v[196:199], a[112:113], v[144:145], 0// 000000016428: D3D700C4 0A032170
	v_mfma_i32_16x16x32_i8 v[196:199], a[114:115], v[146:147], v[196:199]// 000000016430: D3D700C4 0F132572
	v_mfma_i32_16x16x32_i8 v[196:199], a[116:117], v[148:149], v[196:199]// 000000016438: D3D700C4 0F132974
	v_mfma_i32_16x16x32_i8 v[196:199], a[118:119], v[150:151], v[196:199]// 000000016440: D3D700C4 0F132D76
	v_mfma_i32_16x16x32_i8 v[196:199], a[120:121], v[152:153], v[196:199]// 000000016448: D3D700C4 0F133178
	v_mfma_i32_16x16x32_i8 v[196:199], a[122:123], v[154:155], v[196:199]// 000000016450: D3D700C4 0F13357A
	v_mfma_i32_16x16x32_i8 v[196:199], a[124:125], v[156:157], v[196:199]// 000000016458: D3D700C4 0F13397C
	v_mfma_i32_16x16x32_i8 v[196:199], a[126:127], v[158:159], v[196:199]// 000000016460: D3D700C4 0F133D7E
	v_add_u32_e32 v1, s56, v1                                  // 000000016468: 68020238
	s_addk_i32 s70, 0x100                                      // 00000001646C: B7460100
	s_cmp_lt_i32 s70, s71                                      // 000000016470: BF044746
	s_cbranch_scc0 label_430F                                  // 000000016474: BF84F271
	s_branch label_4312                                        // 000000016478: BF82F273

000000000001647c <label_509F>:
	s_lshr_b32 s60, s71, 4                                     // 00000001647C: 8F3C8447
	s_cmp_eq_i32 s60, s73                                      // 000000016480: BF00493C
	s_cbranch_scc1 label_6042                                  // 000000016484: BF850FA0
	s_lshr_b32 s60, s71, 8                                     // 000000016488: 8F3C8847
	s_and_b32 s60, s60, 1                                      // 00000001648C: 863C813C
	s_cmp_eq_i32 s60, 1                                        // 000000016490: BF00813C
	s_cbranch_scc1 label_5874                                  // 000000016494: BF8507CE
	s_waitcnt vmcnt(8) lgkmcnt(0)                              // 000000016498: BF8C0078
	s_barrier                                                  // 00000001649C: BF8A0000
	v_mfma_i32_16x16x32_i8 v[112:115], a[0:1], v[80:81], 0     // 0000000164A0: D3D70070 0A02A100
	v_mfma_i32_16x16x32_i8 v[112:115], a[2:3], v[82:83], v[112:115]// 0000000164A8: D3D70070 0DC2A502
	v_mfma_i32_16x16x32_i8 v[112:115], a[4:5], v[84:85], v[112:115]// 0000000164B0: D3D70070 0DC2A904
	v_mfma_i32_16x16x32_i8 v[112:115], a[6:7], v[86:87], v[112:115]// 0000000164B8: D3D70070 0DC2AD06
	v_mfma_i32_16x16x32_i8 v[116:119], a[8:9], v[80:81], 0     // 0000000164C0: D3D70074 0A02A108
	v_mfma_i32_16x16x32_i8 v[116:119], a[10:11], v[82:83], v[116:119]// 0000000164C8: D3D70074 0DD2A50A
	v_mfma_i32_16x16x32_i8 v[116:119], a[12:13], v[84:85], v[116:119]// 0000000164D0: D3D70074 0DD2A90C
	v_mfma_i32_16x16x32_i8 v[116:119], a[14:15], v[86:87], v[116:119]// 0000000164D8: D3D70074 0DD2AD0E
	v_mfma_i32_16x16x32_i8 v[120:123], a[16:17], v[80:81], 0   // 0000000164E0: D3D70078 0A02A110
	v_mfma_i32_16x16x32_i8 v[120:123], a[18:19], v[82:83], v[120:123]// 0000000164E8: D3D70078 0DE2A512
	v_mfma_i32_16x16x32_i8 v[120:123], a[20:21], v[84:85], v[120:123]// 0000000164F0: D3D70078 0DE2A914
	v_mfma_i32_16x16x32_i8 v[120:123], a[22:23], v[86:87], v[120:123]// 0000000164F8: D3D70078 0DE2AD16
	v_mfma_i32_16x16x32_i8 v[124:127], a[24:25], v[80:81], 0   // 000000016500: D3D7007C 0A02A118
	v_mfma_i32_16x16x32_i8 v[124:127], a[26:27], v[82:83], v[124:127]// 000000016508: D3D7007C 0DF2A51A
	v_mfma_i32_16x16x32_i8 v[124:127], a[28:29], v[84:85], v[124:127]// 000000016510: D3D7007C 0DF2A91C
	v_mfma_i32_16x16x32_i8 v[124:127], a[30:31], v[86:87], v[124:127]// 000000016518: D3D7007C 0DF2AD1E
	v_mfma_i32_16x16x32_i8 v[128:131], a[0:1], v[88:89], 0     // 000000016520: D3D70080 0A02B100
	v_mfma_i32_16x16x32_i8 v[128:131], a[2:3], v[90:91], v[128:131]// 000000016528: D3D70080 0E02B502
	v_mfma_i32_16x16x32_i8 v[128:131], a[4:5], v[92:93], v[128:131]// 000000016530: D3D70080 0E02B904
	v_mfma_i32_16x16x32_i8 v[128:131], a[6:7], v[94:95], v[128:131]// 000000016538: D3D70080 0E02BD06
	v_mfma_i32_16x16x32_i8 v[132:135], a[8:9], v[88:89], 0     // 000000016540: D3D70084 0A02B108
	v_mfma_i32_16x16x32_i8 v[132:135], a[10:11], v[90:91], v[132:135]// 000000016548: D3D70084 0E12B50A
	v_mfma_i32_16x16x32_i8 v[132:135], a[12:13], v[92:93], v[132:135]// 000000016550: D3D70084 0E12B90C
	v_mfma_i32_16x16x32_i8 v[132:135], a[14:15], v[94:95], v[132:135]// 000000016558: D3D70084 0E12BD0E
	v_mfma_i32_16x16x32_i8 v[136:139], a[16:17], v[88:89], 0   // 000000016560: D3D70088 0A02B110
	v_mfma_i32_16x16x32_i8 v[136:139], a[18:19], v[90:91], v[136:139]// 000000016568: D3D70088 0E22B512
	v_mfma_i32_16x16x32_i8 v[136:139], a[20:21], v[92:93], v[136:139]// 000000016570: D3D70088 0E22B914
	v_mfma_i32_16x16x32_i8 v[136:139], a[22:23], v[94:95], v[136:139]// 000000016578: D3D70088 0E22BD16
	v_mfma_i32_16x16x32_i8 v[140:143], a[24:25], v[88:89], 0   // 000000016580: D3D7008C 0A02B118
	v_mfma_i32_16x16x32_i8 v[140:143], a[26:27], v[90:91], v[140:143]// 000000016588: D3D7008C 0E32B51A
	v_mfma_i32_16x16x32_i8 v[140:143], a[28:29], v[92:93], v[140:143]// 000000016590: D3D7008C 0E32B91C
	v_mfma_i32_16x16x32_i8 v[140:143], a[30:31], v[94:95], v[140:143]// 000000016598: D3D7008C 0E32BD1E
	v_mfma_i32_16x16x32_i8 v[144:147], a[0:1], v[96:97], 0     // 0000000165A0: D3D70090 0A02C100
	v_mfma_i32_16x16x32_i8 v[144:147], a[2:3], v[98:99], v[144:147]// 0000000165A8: D3D70090 0E42C502
	v_mfma_i32_16x16x32_i8 v[144:147], a[4:5], v[100:101], v[144:147]// 0000000165B0: D3D70090 0E42C904
	v_mfma_i32_16x16x32_i8 v[144:147], a[6:7], v[102:103], v[144:147]// 0000000165B8: D3D70090 0E42CD06
	v_mfma_i32_16x16x32_i8 v[148:151], a[8:9], v[96:97], 0     // 0000000165C0: D3D70094 0A02C108
	v_mfma_i32_16x16x32_i8 v[148:151], a[10:11], v[98:99], v[148:151]// 0000000165C8: D3D70094 0E52C50A
	v_mfma_i32_16x16x32_i8 v[148:151], a[12:13], v[100:101], v[148:151]// 0000000165D0: D3D70094 0E52C90C
	v_mfma_i32_16x16x32_i8 v[148:151], a[14:15], v[102:103], v[148:151]// 0000000165D8: D3D70094 0E52CD0E
	v_mfma_i32_16x16x32_i8 v[152:155], a[16:17], v[96:97], 0   // 0000000165E0: D3D70098 0A02C110
	v_mfma_i32_16x16x32_i8 v[152:155], a[18:19], v[98:99], v[152:155]// 0000000165E8: D3D70098 0E62C512
	v_mfma_i32_16x16x32_i8 v[152:155], a[20:21], v[100:101], v[152:155]// 0000000165F0: D3D70098 0E62C914
	v_mfma_i32_16x16x32_i8 v[152:155], a[22:23], v[102:103], v[152:155]// 0000000165F8: D3D70098 0E62CD16
	v_mfma_i32_16x16x32_i8 v[156:159], a[24:25], v[96:97], 0   // 000000016600: D3D7009C 0A02C118
	v_mfma_i32_16x16x32_i8 v[156:159], a[26:27], v[98:99], v[156:159]// 000000016608: D3D7009C 0E72C51A
	v_mfma_i32_16x16x32_i8 v[156:159], a[28:29], v[100:101], v[156:159]// 000000016610: D3D7009C 0E72C91C
	v_mfma_i32_16x16x32_i8 v[156:159], a[30:31], v[102:103], v[156:159]// 000000016618: D3D7009C 0E72CD1E
	v_mov_b32_dpp v64, v42 row_shr:4 row_mask:0xf bank_mask:0xf// 000000016620: 7E8002FA FF01142A
	v_mov_b32_dpp v65, v42 row_shl:4 row_mask:0xf bank_mask:0xf// 000000016628: 7E8202FA FF01042A
	v_cndmask_b32_e64 v248, v42, v64, s[44:45]                 // 000000016630: D10000F8 00B2812A
	v_cndmask_b32_e64 v249, v65, v42, s[44:45]                 // 000000016638: D10000F9 00B25541
	v_mov_b32_dpp v64, v248 row_shr:8 row_mask:0xf bank_mask:0xf// 000000016640: 7E8002FA FF0118F8
	v_mov_b32_dpp v65, v248 row_shl:8 row_mask:0xf bank_mask:0xf// 000000016648: 7E8202FA FF0108F8
	v_mov_b32_dpp v66, v249 row_shr:8 row_mask:0xf bank_mask:0xf// 000000016650: 7E8402FA FF0118F9
	v_mov_b32_dpp v67, v249 row_shl:8 row_mask:0xf bank_mask:0xf// 000000016658: 7E8602FA FF0108F9
	v_mov_b32_e32 v68, v248                                    // 000000016660: 7E8803F8
	v_mov_b32_e32 v69, v249                                    // 000000016664: 7E8A03F9
	v_cndmask_b32_e64 v248, v68, v64, s[42:43]                 // 000000016668: D10000F8 00AA8144
	v_cndmask_b32_e64 v250, v68, v65, s[78:79]                 // 000000016670: D10000FA 013A8344
	v_cndmask_b32_e64 v249, v69, v66, s[42:43]                 // 000000016678: D10000F9 00AA8545
	v_cndmask_b32_e64 v251, v69, v67, s[78:79]                 // 000000016680: D10000FB 013A8745
	v_mov_b32_dpp v64, v57 row_shr:4 row_mask:0xf bank_mask:0xf// 000000016688: 7E8002FA FF011439
	v_mov_b32_dpp v65, v57 row_shl:4 row_mask:0xf bank_mask:0xf// 000000016690: 7E8202FA FF010439
	v_cndmask_b32_e64 v252, v57, v64, s[44:45]                 // 000000016698: D10000FC 00B28139
	v_cndmask_b32_e64 v253, v65, v57, s[44:45]                 // 0000000166A0: D10000FD 00B27341
	v_mov_b32_dpp v64, v252 row_shr:8 row_mask:0xf bank_mask:0xf// 0000000166A8: 7E8002FA FF0118FC
	v_mov_b32_dpp v65, v252 row_shl:8 row_mask:0xf bank_mask:0xf// 0000000166B0: 7E8202FA FF0108FC
	v_mov_b32_dpp v66, v253 row_shr:8 row_mask:0xf bank_mask:0xf// 0000000166B8: 7E8402FA FF0118FD
	v_mov_b32_dpp v67, v253 row_shl:8 row_mask:0xf bank_mask:0xf// 0000000166C0: 7E8602FA FF0108FD
	v_mov_b32_e32 v68, v252                                    // 0000000166C8: 7E8803FC
	v_mov_b32_e32 v69, v253                                    // 0000000166CC: 7E8A03FD
	v_cndmask_b32_e64 v252, v68, v64, s[42:43]                 // 0000000166D0: D10000FC 00AA8144
	v_cndmask_b32_e64 v254, v68, v65, s[78:79]                 // 0000000166D8: D10000FE 013A8344
	v_cndmask_b32_e64 v253, v69, v66, s[42:43]                 // 0000000166E0: D10000FD 00AA8545
	v_cndmask_b32_e64 v255, v69, v67, s[78:79]                 // 0000000166E8: D10000FF 013A8745
	v_cvt_f32_i32_e32 v112, v112                               // 0000000166F0: 7EE00B70
	v_cvt_f32_i32_e32 v113, v113                               // 0000000166F4: 7EE20B71
	v_cvt_f32_i32_e32 v114, v114                               // 0000000166F8: 7EE40B72
	v_cvt_f32_i32_e32 v115, v115                               // 0000000166FC: 7EE60B73
	v_cvt_f32_i32_e32 v116, v116                               // 000000016700: 7EE80B74
	v_cvt_f32_i32_e32 v117, v117                               // 000000016704: 7EEA0B75
	v_cvt_f32_i32_e32 v118, v118                               // 000000016708: 7EEC0B76
	v_cvt_f32_i32_e32 v119, v119                               // 00000001670C: 7EEE0B77
	v_cvt_f32_i32_e32 v120, v120                               // 000000016710: 7EF00B78
	v_cvt_f32_i32_e32 v121, v121                               // 000000016714: 7EF20B79
	v_cvt_f32_i32_e32 v122, v122                               // 000000016718: 7EF40B7A
	v_cvt_f32_i32_e32 v123, v123                               // 00000001671C: 7EF60B7B
	v_cvt_f32_i32_e32 v124, v124                               // 000000016720: 7EF80B7C
	v_cvt_f32_i32_e32 v125, v125                               // 000000016724: 7EFA0B7D
	v_cvt_f32_i32_e32 v126, v126                               // 000000016728: 7EFC0B7E
	v_cvt_f32_i32_e32 v127, v127                               // 00000001672C: 7EFE0B7F
	v_mul_f32_e32 v112, v18, v112                              // 000000016730: 0AE0E112
	v_mul_f32_e32 v113, v18, v113                              // 000000016734: 0AE2E312
	v_mul_f32_e32 v114, v18, v114                              // 000000016738: 0AE4E512
	v_mul_f32_e32 v115, v18, v115                              // 00000001673C: 0AE6E712
	v_mul_f32_e32 v116, v18, v116                              // 000000016740: 0AE8E912
	v_mul_f32_e32 v117, v18, v117                              // 000000016744: 0AEAEB12
	v_mul_f32_e32 v118, v18, v118                              // 000000016748: 0AECED12
	v_mul_f32_e32 v119, v18, v119                              // 00000001674C: 0AEEEF12
	v_mul_f32_e32 v120, v18, v120                              // 000000016750: 0AF0F112
	v_mul_f32_e32 v121, v18, v121                              // 000000016754: 0AF2F312
	v_mul_f32_e32 v122, v18, v122                              // 000000016758: 0AF4F512
	v_mul_f32_e32 v123, v18, v123                              // 00000001675C: 0AF6F712
	v_mul_f32_e32 v124, v18, v124                              // 000000016760: 0AF8F912
	v_mul_f32_e32 v125, v18, v125                              // 000000016764: 0AFAFB12
	v_mul_f32_e32 v126, v18, v126                              // 000000016768: 0AFCFD12
	v_mul_f32_e32 v127, v18, v127                              // 00000001676C: 0AFEFF12
	v_mul_f32_dpp v112, v248, v112 quad_perm:[0,0,0,0] row_mask:0xf bank_mask:0xf// 000000016770: 0AE0E0FA FF0000F8
	v_mul_f32_dpp v113, v248, v113 quad_perm:[1,1,1,1] row_mask:0xf bank_mask:0xf// 000000016778: 0AE2E2FA FF0055F8
	v_mul_f32_dpp v114, v248, v114 quad_perm:[2,2,2,2] row_mask:0xf bank_mask:0xf// 000000016780: 0AE4E4FA FF00AAF8
	v_mul_f32_dpp v115, v248, v115 quad_perm:[3,3,3,3] row_mask:0xf bank_mask:0xf// 000000016788: 0AE6E6FA FF00FFF8
	v_mul_f32_dpp v116, v249, v116 quad_perm:[0,0,0,0] row_mask:0xf bank_mask:0xf// 000000016790: 0AE8E8FA FF0000F9
	v_mul_f32_dpp v117, v249, v117 quad_perm:[1,1,1,1] row_mask:0xf bank_mask:0xf// 000000016798: 0AEAEAFA FF0055F9
	v_mul_f32_dpp v118, v249, v118 quad_perm:[2,2,2,2] row_mask:0xf bank_mask:0xf// 0000000167A0: 0AECECFA FF00AAF9
	v_mul_f32_dpp v119, v249, v119 quad_perm:[3,3,3,3] row_mask:0xf bank_mask:0xf// 0000000167A8: 0AEEEEFA FF00FFF9
	v_mul_f32_dpp v120, v250, v120 quad_perm:[0,0,0,0] row_mask:0xf bank_mask:0xf// 0000000167B0: 0AF0F0FA FF0000FA
	v_mul_f32_dpp v121, v250, v121 quad_perm:[1,1,1,1] row_mask:0xf bank_mask:0xf// 0000000167B8: 0AF2F2FA FF0055FA
	v_mul_f32_dpp v122, v250, v122 quad_perm:[2,2,2,2] row_mask:0xf bank_mask:0xf// 0000000167C0: 0AF4F4FA FF00AAFA
	v_mul_f32_dpp v123, v250, v123 quad_perm:[3,3,3,3] row_mask:0xf bank_mask:0xf// 0000000167C8: 0AF6F6FA FF00FFFA
	v_mul_f32_dpp v124, v251, v124 quad_perm:[0,0,0,0] row_mask:0xf bank_mask:0xf// 0000000167D0: 0AF8F8FA FF0000FB
	v_mul_f32_dpp v125, v251, v125 quad_perm:[1,1,1,1] row_mask:0xf bank_mask:0xf// 0000000167D8: 0AFAFAFA FF0055FB
	v_mul_f32_dpp v126, v251, v126 quad_perm:[2,2,2,2] row_mask:0xf bank_mask:0xf// 0000000167E0: 0AFCFCFA FF00AAFB
	v_mul_f32_dpp v127, v251, v127 quad_perm:[3,3,3,3] row_mask:0xf bank_mask:0xf// 0000000167E8: 0AFEFEFA FF00FFFB
	s_and_b32 s60, s72, 0xff                                   // 0000000167F0: 863CFF48 000000FF
	v_mov_b32_e32 v65, s60                                     // 0000000167F8: 7E82023C
	v_lshrrev_b32_e32 v240, 4, v0                              // 0000000167FC: 21E00084
	v_mul_i32_i24_e32 v240, 4, v240                            // 000000016800: 0DE1E084
	s_mul_i32 s60, s7, 16                                      // 000000016804: 923C9007
	v_add_u32_e32 v240, s60, v240                              // 000000016808: 69E1E03C
	v_add_u32_e32 v241, 1, v240                                // 00000001680C: 69E3E081
	v_add_u32_e32 v242, 2, v240                                // 000000016810: 69E5E082
	v_add_u32_e32 v243, 3, v240                                // 000000016814: 69E7E083
	v_mov_b32_e32 v64, 0xff800000                              // 000000016818: 7E8002FF FF800000
	v_cmp_lt_u32_e64 s[40:41], v240, v65                       // 000000016820: D0C90028 000283F0
	v_add_u32_e32 v240, 64, v240                               // 000000016828: 69E1E0C0
	s_nop 0                                                    // 00000001682C: BF800000
	v_cndmask_b32_e64 v112, v64, v112, s[40:41]                // 000000016830: D1000070 00A2E140
	v_cmp_lt_u32_e64 s[40:41], v241, v65                       // 000000016838: D0C90028 000283F1
	v_add_u32_e32 v241, 64, v241                               // 000000016840: 69E3E2C0
	s_nop 0                                                    // 000000016844: BF800000
	v_cndmask_b32_e64 v113, v64, v113, s[40:41]                // 000000016848: D1000071 00A2E340
	v_cmp_lt_u32_e64 s[40:41], v242, v65                       // 000000016850: D0C90028 000283F2
	v_add_u32_e32 v242, 64, v242                               // 000000016858: 69E5E4C0
	s_nop 0                                                    // 00000001685C: BF800000
	v_cndmask_b32_e64 v114, v64, v114, s[40:41]                // 000000016860: D1000072 00A2E540
	v_cmp_lt_u32_e64 s[40:41], v243, v65                       // 000000016868: D0C90028 000283F3
	v_add_u32_e32 v243, 64, v243                               // 000000016870: 69E7E6C0
	s_nop 0                                                    // 000000016874: BF800000
	v_cndmask_b32_e64 v115, v64, v115, s[40:41]                // 000000016878: D1000073 00A2E740
	v_cmp_lt_u32_e64 s[40:41], v240, v65                       // 000000016880: D0C90028 000283F0
	v_add_u32_e32 v240, 64, v240                               // 000000016888: 69E1E0C0
	s_nop 0                                                    // 00000001688C: BF800000
	v_cndmask_b32_e64 v116, v64, v116, s[40:41]                // 000000016890: D1000074 00A2E940
	v_cmp_lt_u32_e64 s[40:41], v241, v65                       // 000000016898: D0C90028 000283F1
	v_add_u32_e32 v241, 64, v241                               // 0000000168A0: 69E3E2C0
	s_nop 0                                                    // 0000000168A4: BF800000
	v_cndmask_b32_e64 v117, v64, v117, s[40:41]                // 0000000168A8: D1000075 00A2EB40
	v_cmp_lt_u32_e64 s[40:41], v242, v65                       // 0000000168B0: D0C90028 000283F2
	v_add_u32_e32 v242, 64, v242                               // 0000000168B8: 69E5E4C0
	s_nop 0                                                    // 0000000168BC: BF800000
	v_cndmask_b32_e64 v118, v64, v118, s[40:41]                // 0000000168C0: D1000076 00A2ED40
	v_cmp_lt_u32_e64 s[40:41], v243, v65                       // 0000000168C8: D0C90028 000283F3
	v_add_u32_e32 v243, 64, v243                               // 0000000168D0: 69E7E6C0
	s_nop 0                                                    // 0000000168D4: BF800000
	v_cndmask_b32_e64 v119, v64, v119, s[40:41]                // 0000000168D8: D1000077 00A2EF40
	v_cmp_lt_u32_e64 s[40:41], v240, v65                       // 0000000168E0: D0C90028 000283F0
	v_add_u32_e32 v240, 64, v240                               // 0000000168E8: 69E1E0C0
	s_nop 0                                                    // 0000000168EC: BF800000
	v_cndmask_b32_e64 v120, v64, v120, s[40:41]                // 0000000168F0: D1000078 00A2F140
	v_cmp_lt_u32_e64 s[40:41], v241, v65                       // 0000000168F8: D0C90028 000283F1
	v_add_u32_e32 v241, 64, v241                               // 000000016900: 69E3E2C0
	s_nop 0                                                    // 000000016904: BF800000
	v_cndmask_b32_e64 v121, v64, v121, s[40:41]                // 000000016908: D1000079 00A2F340
	v_cmp_lt_u32_e64 s[40:41], v242, v65                       // 000000016910: D0C90028 000283F2
	v_add_u32_e32 v242, 64, v242                               // 000000016918: 69E5E4C0
	s_nop 0                                                    // 00000001691C: BF800000
	v_cndmask_b32_e64 v122, v64, v122, s[40:41]                // 000000016920: D100007A 00A2F540
	v_cmp_lt_u32_e64 s[40:41], v243, v65                       // 000000016928: D0C90028 000283F3
	v_add_u32_e32 v243, 64, v243                               // 000000016930: 69E7E6C0
	s_nop 0                                                    // 000000016934: BF800000
	v_cndmask_b32_e64 v123, v64, v123, s[40:41]                // 000000016938: D100007B 00A2F740
	v_cmp_lt_u32_e64 s[40:41], v240, v65                       // 000000016940: D0C90028 000283F0
	v_add_u32_e32 v240, 64, v240                               // 000000016948: 69E1E0C0
	s_nop 0                                                    // 00000001694C: BF800000
	v_cndmask_b32_e64 v124, v64, v124, s[40:41]                // 000000016950: D100007C 00A2F940
	v_cmp_lt_u32_e64 s[40:41], v241, v65                       // 000000016958: D0C90028 000283F1
	v_add_u32_e32 v241, 64, v241                               // 000000016960: 69E3E2C0
	s_nop 0                                                    // 000000016964: BF800000
	v_cndmask_b32_e64 v125, v64, v125, s[40:41]                // 000000016968: D100007D 00A2FB40
	v_cmp_lt_u32_e64 s[40:41], v242, v65                       // 000000016970: D0C90028 000283F2
	v_add_u32_e32 v242, 64, v242                               // 000000016978: 69E5E4C0
	s_nop 0                                                    // 00000001697C: BF800000
	v_cndmask_b32_e64 v126, v64, v126, s[40:41]                // 000000016980: D100007E 00A2FD40
	v_cmp_lt_u32_e64 s[40:41], v243, v65                       // 000000016988: D0C90028 000283F3
	v_add_u32_e32 v243, 64, v243                               // 000000016990: 69E7E6C0
	s_nop 0                                                    // 000000016994: BF800000
	v_cndmask_b32_e64 v127, v64, v127, s[40:41]                // 000000016998: D100007F 00A2FF40
	v_mov_b32_e32 v48, v112                                    // 0000000169A0: 7E600370
	v_max3_f32 v48, v112, v113, v48                            // 0000000169A4: D1D30030 04C2E370
	v_max3_f32 v48, v114, v115, v48                            // 0000000169AC: D1D30030 04C2E772
	v_max3_f32 v48, v116, v117, v48                            // 0000000169B4: D1D30030 04C2EB74
	v_max3_f32 v48, v118, v119, v48                            // 0000000169BC: D1D30030 04C2EF76
	v_max3_f32 v48, v120, v121, v48                            // 0000000169C4: D1D30030 04C2F378
	v_max3_f32 v48, v122, v123, v48                            // 0000000169CC: D1D30030 04C2F77A
	v_max3_f32 v48, v124, v125, v48                            // 0000000169D4: D1D30030 04C2FB7C
	v_max3_f32 v48, v126, v127, v48                            // 0000000169DC: D1D30030 04C2FF7E
	ds_write_b32 v8, v48 offset:16896                          // 0000000169E4: D81A4200 00003008
	v_mul_u32_u24_dpp v64, v17, v54 row_newbcast:1 row_mask:0xf bank_mask:0xf// 0000000169EC: 10806CFA FF015111
	v_mul_u32_u24_dpp v65, v17, v54 row_newbcast:5 row_mask:0xf bank_mask:0xf// 0000000169F4: 10826CFA FF015511
	v_mul_u32_u24_dpp v66, v17, v54 row_newbcast:9 row_mask:0xf bank_mask:0xf// 0000000169FC: 10846CFA FF015911
	v_mul_u32_u24_dpp v67, v17, v54 row_newbcast:13 row_mask:0xf bank_mask:0xf// 000000016A04: 10866CFA FF015D11
	v_add_u32_e32 v34, v64, v6                                 // 000000016A0C: 68440D40
	v_add_u32_e32 v35, v65, v6                                 // 000000016A10: 68460D41
	v_add_u32_e32 v36, v66, v6                                 // 000000016A14: 68480D42
	v_add_u32_e32 v37, v67, v6                                 // 000000016A18: 684A0D43
	v_mul_f32_e32 v208, v49, v208                              // 000000016A1C: 0BA1A131
	v_mul_f32_e32 v209, v49, v209                              // 000000016A20: 0BA3A331
	v_mul_f32_e32 v210, v49, v210                              // 000000016A24: 0BA5A531
	v_mul_f32_e32 v211, v49, v211                              // 000000016A28: 0BA7A731
	v_mul_f32_e32 v212, v49, v212                              // 000000016A2C: 0BA9A931
	v_mul_f32_e32 v213, v49, v213                              // 000000016A30: 0BABAB31
	v_mul_f32_e32 v214, v49, v214                              // 000000016A34: 0BADAD31
	v_mul_f32_e32 v215, v49, v215                              // 000000016A38: 0BAFAF31
	s_waitcnt lgkmcnt(0)                                       // 000000016A3C: BF8CC07F
	s_barrier                                                  // 000000016A40: BF8A0000
	ds_read_b32 v64, v7 offset:16896                           // 000000016A44: D86C4200 40000007
	ds_read_b32 v65, v7 offset:16960                           // 000000016A4C: D86C4240 41000007
	ds_read_b32 v66, v7 offset:17024                           // 000000016A54: D86C4280 42000007
	ds_read_b32 v67, v7 offset:17088                           // 000000016A5C: D86C42C0 43000007
	ds_read_b32 v68, v7 offset:17152                           // 000000016A64: D86C4300 44000007
	ds_read_b32 v69, v7 offset:17216                           // 000000016A6C: D86C4340 45000007
	ds_read_b32 v70, v7 offset:17280                           // 000000016A74: D86C4380 46000007
	ds_read_b32 v71, v7 offset:17344                           // 000000016A7C: D86C43C0 47000007
	ds_read_b32 v72, v7 offset:17408                           // 000000016A84: D86C4400 48000007
	ds_read_b32 v73, v7 offset:17472                           // 000000016A8C: D86C4440 49000007
	ds_read_b32 v74, v7 offset:17536                           // 000000016A94: D86C4480 4A000007
	ds_read_b32 v75, v7 offset:17600                           // 000000016A9C: D86C44C0 4B000007
	ds_read_b32 v76, v7 offset:17664                           // 000000016AA4: D86C4500 4C000007
	ds_read_b32 v77, v7 offset:17728                           // 000000016AAC: D86C4540 4D000007
	ds_read_b32 v78, v7 offset:17792                           // 000000016AB4: D86C4580 4E000007
	ds_read_b32 v79, v7 offset:17856                           // 000000016ABC: D86C45C0 4F000007
	v_cvt_f32_i32_e32 v176, v176                               // 000000016AC4: 7F600BB0
	v_cvt_f32_i32_e32 v177, v177                               // 000000016AC8: 7F620BB1
	v_cvt_f32_i32_e32 v178, v178                               // 000000016ACC: 7F640BB2
	v_cvt_f32_i32_e32 v179, v179                               // 000000016AD0: 7F660BB3
	v_cvt_f32_i32_e32 v180, v180                               // 000000016AD4: 7F680BB4
	v_cvt_f32_i32_e32 v181, v181                               // 000000016AD8: 7F6A0BB5
	v_cvt_f32_i32_e32 v182, v182                               // 000000016ADC: 7F6C0BB6
	v_cvt_f32_i32_e32 v183, v183                               // 000000016AE0: 7F6E0BB7
	v_mul_f32_e32 v176, v44, v176                              // 000000016AE4: 0B61612C
	v_mul_f32_e32 v177, v44, v177                              // 000000016AE8: 0B63632C
	v_mul_f32_e32 v178, v44, v178                              // 000000016AEC: 0B65652C
	v_mul_f32_e32 v179, v44, v179                              // 000000016AF0: 0B67672C
	v_mul_f32_e32 v180, v44, v180                              // 000000016AF4: 0B69692C
	v_mul_f32_e32 v181, v44, v181                              // 000000016AF8: 0B6B6B2C
	v_mul_f32_e32 v182, v44, v182                              // 000000016AFC: 0B6D6D2C
	v_mul_f32_e32 v183, v44, v183                              // 000000016B00: 0B6F6F2C
	s_waitcnt lgkmcnt(0)                                       // 000000016B04: BF8CC07F
	v_max3_f32 v48, v64, v65, v48                              // 000000016B08: D1D30030 04C28340
	v_max3_f32 v48, v66, v67, v48                              // 000000016B10: D1D30030 04C28742
	v_max3_f32 v48, v68, v69, v48                              // 000000016B18: D1D30030 04C28B44
	v_max3_f32 v48, v70, v71, v48                              // 000000016B20: D1D30030 04C28F46
	v_max3_f32 v48, v72, v73, v48                              // 000000016B28: D1D30030 04C29348
	v_max3_f32 v48, v74, v75, v48                              // 000000016B30: D1D30030 04C2974A
	v_max3_f32 v48, v76, v77, v48                              // 000000016B38: D1D30030 04C29B4C
	v_max3_f32 v48, v78, v79, v48                              // 000000016B40: D1D30030 04C29F4E
	v_mov_b32_e32 v64, 0xff800000                              // 000000016B48: 7E8002FF FF800000
	v_cmp_eq_u32_e64 s[40:41], v64, v11                        // 000000016B50: D0CA0028 00021740
	s_nop 1                                                    // 000000016B58: BF800001
	v_max_f32_e32 v15, v48, v11                                // 000000016B5C: 161E1730
	v_mul_f32_e32 v53, s64, v15                                // 000000016B60: 0A6A1E40
	v_fma_f32 v112, v112, s64, -v53                            // 000000016B64: D1CB0070 84D48170
	v_fma_f32 v113, v113, s64, -v53                            // 000000016B6C: D1CB0071 84D48171
	v_fma_f32 v114, v114, s64, -v53                            // 000000016B74: D1CB0072 84D48172
	v_fma_f32 v115, v115, s64, -v53                            // 000000016B7C: D1CB0073 84D48173
	v_fma_f32 v116, v116, s64, -v53                            // 000000016B84: D1CB0074 84D48174
	v_fma_f32 v117, v117, s64, -v53                            // 000000016B8C: D1CB0075 84D48175
	v_fma_f32 v118, v118, s64, -v53                            // 000000016B94: D1CB0076 84D48176
	v_fma_f32 v119, v119, s64, -v53                            // 000000016B9C: D1CB0077 84D48177
	v_fma_f32 v120, v120, s64, -v53                            // 000000016BA4: D1CB0078 84D48178
	v_fma_f32 v121, v121, s64, -v53                            // 000000016BAC: D1CB0079 84D48179
	v_fma_f32 v122, v122, s64, -v53                            // 000000016BB4: D1CB007A 84D4817A
	v_fma_f32 v123, v123, s64, -v53                            // 000000016BBC: D1CB007B 84D4817B
	v_fma_f32 v124, v124, s64, -v53                            // 000000016BC4: D1CB007C 84D4817C
	v_fma_f32 v125, v125, s64, -v53                            // 000000016BCC: D1CB007D 84D4817D
	v_fma_f32 v126, v126, s64, -v53                            // 000000016BD4: D1CB007E 84D4817E
	v_fma_f32 v127, v127, s64, -v53                            // 000000016BDC: D1CB007F 84D4817F
	v_exp_f32_e32 v112, v112                                   // 000000016BE4: 7EE04170
	v_exp_f32_e32 v113, v113                                   // 000000016BE8: 7EE24171
	v_exp_f32_e32 v114, v114                                   // 000000016BEC: 7EE44172
	v_exp_f32_e32 v115, v115                                   // 000000016BF0: 7EE64173
	v_exp_f32_e32 v116, v116                                   // 000000016BF4: 7EE84174
	v_exp_f32_e32 v117, v117                                   // 000000016BF8: 7EEA4175
	v_exp_f32_e32 v118, v118                                   // 000000016BFC: 7EEC4176
	v_exp_f32_e32 v119, v119                                   // 000000016C00: 7EEE4177
	v_exp_f32_e32 v120, v120                                   // 000000016C04: 7EF04178
	v_exp_f32_e32 v121, v121                                   // 000000016C08: 7EF24179
	v_exp_f32_e32 v122, v122                                   // 000000016C0C: 7EF4417A
	v_exp_f32_e32 v123, v123                                   // 000000016C10: 7EF6417B
	v_exp_f32_e32 v124, v124                                   // 000000016C14: 7EF8417C
	v_exp_f32_e32 v125, v125                                   // 000000016C18: 7EFA417D
	v_exp_f32_e32 v126, v126                                   // 000000016C1C: 7EFC417E
	v_exp_f32_e32 v127, v127                                   // 000000016C20: 7EFE417F
	v_mul_f32_dpp v240, v252, v112 quad_perm:[0,0,0,0] row_mask:0xf bank_mask:0xf// 000000016C24: 0BE0E0FA FF0000FC
	v_mul_f32_dpp v241, v252, v113 quad_perm:[1,1,1,1] row_mask:0xf bank_mask:0xf// 000000016C2C: 0BE2E2FA FF0055FC
	v_mul_f32_dpp v242, v252, v114 quad_perm:[2,2,2,2] row_mask:0xf bank_mask:0xf// 000000016C34: 0BE4E4FA FF00AAFC
	v_mul_f32_dpp v243, v252, v115 quad_perm:[3,3,3,3] row_mask:0xf bank_mask:0xf// 000000016C3C: 0BE6E6FA FF00FFFC
	v_mul_f32_dpp v244, v253, v116 quad_perm:[0,0,0,0] row_mask:0xf bank_mask:0xf// 000000016C44: 0BE8E8FA FF0000FD
	v_mul_f32_dpp v245, v253, v117 quad_perm:[1,1,1,1] row_mask:0xf bank_mask:0xf// 000000016C4C: 0BEAEAFA FF0055FD
	v_mul_f32_dpp v246, v253, v118 quad_perm:[2,2,2,2] row_mask:0xf bank_mask:0xf// 000000016C54: 0BECECFA FF00AAFD
	v_mul_f32_dpp v247, v253, v119 quad_perm:[3,3,3,3] row_mask:0xf bank_mask:0xf// 000000016C5C: 0BEEEEFA FF00FFFD
	v_mul_f32_dpp v248, v254, v120 quad_perm:[0,0,0,0] row_mask:0xf bank_mask:0xf// 000000016C64: 0BF0F0FA FF0000FE
	v_mul_f32_dpp v249, v254, v121 quad_perm:[1,1,1,1] row_mask:0xf bank_mask:0xf// 000000016C6C: 0BF2F2FA FF0055FE
	v_mul_f32_dpp v250, v254, v122 quad_perm:[2,2,2,2] row_mask:0xf bank_mask:0xf// 000000016C74: 0BF4F4FA FF00AAFE
	v_mul_f32_dpp v251, v254, v123 quad_perm:[3,3,3,3] row_mask:0xf bank_mask:0xf// 000000016C7C: 0BF6F6FA FF00FFFE
	v_mul_f32_dpp v252, v255, v124 quad_perm:[0,0,0,0] row_mask:0xf bank_mask:0xf// 000000016C84: 0BF8F8FA FF0000FF
	v_mul_f32_dpp v253, v255, v125 quad_perm:[1,1,1,1] row_mask:0xf bank_mask:0xf// 000000016C8C: 0BFAFAFA FF0055FF
	v_mul_f32_dpp v254, v255, v126 quad_perm:[2,2,2,2] row_mask:0xf bank_mask:0xf// 000000016C94: 0BFCFCFA FF00AAFF
	v_mul_f32_dpp v255, v255, v127 quad_perm:[3,3,3,3] row_mask:0xf bank_mask:0xf// 000000016C9C: 0BFEFEFA FF00FFFF
	v_mov_b32_e32 v48, 0x358637bd                              // 000000016CA4: 7E6002FF 358637BD
	v_max3_f32 v48, |v240|, |v241|, v48                        // 000000016CAC: D1D30330 04C3E3F0
	v_max3_f32 v48, |v242|, |v243|, v48                        // 000000016CB4: D1D30330 04C3E7F2
	v_max3_f32 v48, |v244|, |v245|, v48                        // 000000016CBC: D1D30330 04C3EBF4
	v_max3_f32 v48, |v246|, |v247|, v48                        // 000000016CC4: D1D30330 04C3EFF6
	v_max3_f32 v48, |v248|, |v249|, v48                        // 000000016CCC: D1D30330 04C3F3F8
	v_max3_f32 v48, |v250|, |v251|, v48                        // 000000016CD4: D1D30330 04C3F7FA
	v_max3_f32 v48, |v252|, |v253|, v48                        // 000000016CDC: D1D30330 04C3FBFC
	v_max3_f32 v48, |v254|, |v255|, v48                        // 000000016CE4: D1D30330 04C3FFFE
	ds_write_b32 v8, v48 offset:20992                          // 000000016CEC: D81A5200 00003008
	v_sub_f32_e32 v49, v11, v15                                // 000000016CF4: 04621F0B
	v_cndmask_b32_e64 v49, v49, 0, s[40:41]                    // 000000016CF8: D1000031 00A10131
	v_mov_b32_e32 v11, v15                                     // 000000016D00: 7E16030F
	v_mul_f32_e32 v49, s64, v49                                // 000000016D04: 0A626240
	v_exp_f32_e32 v49, v49                                     // 000000016D08: 7E624131
	s_waitcnt lgkmcnt(0)                                       // 000000016D0C: BF8CC07F
	s_barrier                                                  // 000000016D10: BF8A0000
	ds_read_b32 v64, v7 offset:20992                           // 000000016D14: D86C5200 40000007
	ds_read_b32 v65, v7 offset:21056                           // 000000016D1C: D86C5240 41000007
	ds_read_b32 v66, v7 offset:21120                           // 000000016D24: D86C5280 42000007
	ds_read_b32 v67, v7 offset:21184                           // 000000016D2C: D86C52C0 43000007
	ds_read_b32 v68, v7 offset:21248                           // 000000016D34: D86C5300 44000007
	ds_read_b32 v69, v7 offset:21312                           // 000000016D3C: D86C5340 45000007
	ds_read_b32 v70, v7 offset:21376                           // 000000016D44: D86C5380 46000007
	ds_read_b32 v71, v7 offset:21440                           // 000000016D4C: D86C53C0 47000007
	ds_read_b32 v72, v7 offset:21504                           // 000000016D54: D86C5400 48000007
	ds_read_b32 v73, v7 offset:21568                           // 000000016D5C: D86C5440 49000007
	ds_read_b32 v74, v7 offset:21632                           // 000000016D64: D86C5480 4A000007
	ds_read_b32 v75, v7 offset:21696                           // 000000016D6C: D86C54C0 4B000007
	ds_read_b32 v76, v7 offset:21760                           // 000000016D74: D86C5500 4C000007
	ds_read_b32 v77, v7 offset:21824                           // 000000016D7C: D86C5540 4D000007
	ds_read_b32 v78, v7 offset:21888                           // 000000016D84: D86C5580 4E000007
	ds_read_b32 v79, v7 offset:21952                           // 000000016D8C: D86C55C0 4F000007
	v_mul_f32_e32 v38, v49, v38                                // 000000016D94: 0A4C4D31
	v_mov_b32_e32 v15, v112                                    // 000000016D98: 7E1E0370
	v_add_f32_e32 v15, v113, v15                               // 000000016D9C: 021E1F71
	v_add_f32_e32 v15, v114, v15                               // 000000016DA0: 021E1F72
	v_add_f32_e32 v15, v115, v15                               // 000000016DA4: 021E1F73
	v_add_f32_e32 v15, v116, v15                               // 000000016DA8: 021E1F74
	v_add_f32_e32 v15, v117, v15                               // 000000016DAC: 021E1F75
	v_add_f32_e32 v15, v118, v15                               // 000000016DB0: 021E1F76
	v_add_f32_e32 v15, v119, v15                               // 000000016DB4: 021E1F77
	v_add_f32_e32 v15, v120, v15                               // 000000016DB8: 021E1F78
	v_add_f32_e32 v15, v121, v15                               // 000000016DBC: 021E1F79
	v_add_f32_e32 v15, v122, v15                               // 000000016DC0: 021E1F7A
	v_add_f32_e32 v15, v123, v15                               // 000000016DC4: 021E1F7B
	v_add_f32_e32 v15, v124, v15                               // 000000016DC8: 021E1F7C
	v_add_f32_e32 v15, v125, v15                               // 000000016DCC: 021E1F7D
	v_add_f32_e32 v15, v126, v15                               // 000000016DD0: 021E1F7E
	v_add_f32_e32 v15, v127, v15                               // 000000016DD4: 021E1F7F
	v_add_f32_e32 v38, v15, v38                                // 000000016DD8: 024C4D0F
	s_waitcnt lgkmcnt(0)                                       // 000000016DDC: BF8CC07F
	v_max3_f32 v48, |v64|, |v65|, v48                          // 000000016DE0: D1D30330 04C28340
	v_max3_f32 v48, |v66|, |v67|, v48                          // 000000016DE8: D1D30330 04C28742
	v_max3_f32 v48, |v68|, |v69|, v48                          // 000000016DF0: D1D30330 04C28B44
	v_max3_f32 v48, |v70|, |v71|, v48                          // 000000016DF8: D1D30330 04C28F46
	v_max3_f32 v48, |v72|, |v73|, v48                          // 000000016E00: D1D30330 04C29348
	v_max3_f32 v48, |v74|, |v75|, v48                          // 000000016E08: D1D30330 04C2974A
	v_max3_f32 v48, |v76|, |v77|, v48                          // 000000016E10: D1D30330 04C29B4C
	v_max3_f32 v48, |v78|, |v79|, v48                          // 000000016E18: D1D30330 04C29F4E
	s_nop 2                                                    // 000000016E20: BF800002
	v_rcp_f32_e32 v48, v48                                     // 000000016E24: 7E604530
	s_nop 1                                                    // 000000016E28: BF800001
	v_mul_f32_e32 v48, 0x42fe0000, v48                         // 000000016E2C: 0A6060FF 42FE0000
	v_mul_f32_e32 v112, v48, v240                              // 000000016E34: 0AE1E130
	v_mul_f32_e32 v113, v48, v241                              // 000000016E38: 0AE3E330
	v_mul_f32_e32 v114, v48, v242                              // 000000016E3C: 0AE5E530
	v_mul_f32_e32 v115, v48, v243                              // 000000016E40: 0AE7E730
	v_mul_f32_e32 v116, v48, v244                              // 000000016E44: 0AE9E930
	v_mul_f32_e32 v117, v48, v245                              // 000000016E48: 0AEBEB30
	v_mul_f32_e32 v118, v48, v246                              // 000000016E4C: 0AEDED30
	v_mul_f32_e32 v119, v48, v247                              // 000000016E50: 0AEFEF30
	v_mul_f32_e32 v120, v48, v248                              // 000000016E54: 0AF1F130
	v_mul_f32_e32 v121, v48, v249                              // 000000016E58: 0AF3F330
	v_mul_f32_e32 v122, v48, v250                              // 000000016E5C: 0AF5F530
	v_mul_f32_e32 v123, v48, v251                              // 000000016E60: 0AF7F730
	v_mul_f32_e32 v124, v48, v252                              // 000000016E64: 0AF9F930
	v_mul_f32_e32 v125, v48, v253                              // 000000016E68: 0AFBFB30
	v_mul_f32_e32 v126, v48, v254                              // 000000016E6C: 0AFDFD30
	v_mul_f32_e32 v127, v48, v255                              // 000000016E70: 0AFFFF30
	v_cvt_i32_f32_e32 v112, v112                               // 000000016E74: 7EE01170
	v_cvt_i32_f32_e32 v113, v113                               // 000000016E78: 7EE21171
	v_cvt_i32_f32_e32 v114, v114                               // 000000016E7C: 7EE41172
	v_cvt_i32_f32_e32 v115, v115                               // 000000016E80: 7EE61173
	v_cvt_i32_f32_e32 v116, v116                               // 000000016E84: 7EE81174
	v_cvt_i32_f32_e32 v117, v117                               // 000000016E88: 7EEA1175
	v_cvt_i32_f32_e32 v118, v118                               // 000000016E8C: 7EEC1176
	v_cvt_i32_f32_e32 v119, v119                               // 000000016E90: 7EEE1177
	v_cvt_i32_f32_e32 v120, v120                               // 000000016E94: 7EF01178
	v_cvt_i32_f32_e32 v121, v121                               // 000000016E98: 7EF21179
	v_cvt_i32_f32_e32 v122, v122                               // 000000016E9C: 7EF4117A
	v_cvt_i32_f32_e32 v123, v123                               // 000000016EA0: 7EF6117B
	v_cvt_i32_f32_e32 v124, v124                               // 000000016EA4: 7EF8117C
	v_cvt_i32_f32_e32 v125, v125                               // 000000016EA8: 7EFA117D
	v_cvt_i32_f32_e32 v126, v126                               // 000000016EAC: 7EFC117E
	v_cvt_i32_f32_e32 v127, v127                               // 000000016EB0: 7EFE117F
	v_perm_b32 v112, v113, v112, s53                           // 000000016EB4: D1ED0070 00D6E171
	v_perm_b32 v112, v114, v112, s54                           // 000000016EBC: D1ED0070 00DAE172
	v_perm_b32 v112, v115, v112, s55                           // 000000016EC4: D1ED0070 00DEE173
	v_perm_b32 v113, v117, v116, s53                           // 000000016ECC: D1ED0071 00D6E975
	v_perm_b32 v113, v118, v113, s54                           // 000000016ED4: D1ED0071 00DAE376
	v_perm_b32 v113, v119, v113, s55                           // 000000016EDC: D1ED0071 00DEE377
	v_perm_b32 v114, v121, v120, s53                           // 000000016EE4: D1ED0072 00D6F179
	v_perm_b32 v114, v122, v114, s54                           // 000000016EEC: D1ED0072 00DAE57A
	v_perm_b32 v114, v123, v114, s55                           // 000000016EF4: D1ED0072 00DEE57B
	v_perm_b32 v115, v125, v124, s53                           // 000000016EFC: D1ED0073 00D6F97D
	v_perm_b32 v115, v126, v115, s54                           // 000000016F04: D1ED0073 00DAE77E
	v_perm_b32 v115, v127, v115, s55                           // 000000016F0C: D1ED0073 00DEE77F
	ds_write_b32 v10, v112 offset:25088                        // 000000016F14: D81A6200 0000700A
	ds_write_b32 v10, v113 offset:26112                        // 000000016F1C: D81A6600 0000710A
	ds_write_b32 v10, v114 offset:27136                        // 000000016F24: D81A6A00 0000720A
	ds_write_b32 v10, v115 offset:28160                        // 000000016F2C: D81A6E00 0000730A
	v_add_f32_e32 v208, v208, v176                             // 000000016F34: 03A161D0
	v_add_f32_e32 v209, v209, v177                             // 000000016F38: 03A363D1
	v_add_f32_e32 v210, v210, v178                             // 000000016F3C: 03A565D2
	v_add_f32_e32 v211, v211, v179                             // 000000016F40: 03A767D3
	v_add_f32_e32 v212, v212, v180                             // 000000016F44: 03A969D4
	v_add_f32_e32 v213, v213, v181                             // 000000016F48: 03AB6BD5
	v_add_f32_e32 v214, v214, v182                             // 000000016F4C: 03AD6DD6
	v_add_f32_e32 v215, v215, v183                             // 000000016F50: 03AF6FD7
	v_rcp_f32_e32 v44, v48                                     // 000000016F54: 7E584530
	s_waitcnt lgkmcnt(0)                                       // 000000016F58: BF8CC07F
	s_barrier                                                  // 000000016F5C: BF8A0000
	ds_read_b64 v[112:113], v9 offset:25088                    // 000000016F60: D8EC6200 70000009
	ds_read_b64 v[114:115], v9 offset:25216                    // 000000016F68: D8EC6280 72000009
	ds_read_b64 v[116:117], v9 offset:26112                    // 000000016F70: D8EC6600 74000009
	ds_read_b64 v[118:119], v9 offset:26240                    // 000000016F78: D8EC6680 76000009
	ds_read_b64 v[120:121], v9 offset:27136                    // 000000016F80: D8EC6A00 78000009
	ds_read_b64 v[122:123], v9 offset:27264                    // 000000016F88: D8EC6A80 7A000009
	ds_read_b64 v[124:125], v9 offset:28160                    // 000000016F90: D8EC6E00 7C000009
	ds_read_b64 v[126:127], v9 offset:28288                    // 000000016F98: D8EC6E80 7E000009
	v_mov_b32_dpp v64, v42 row_shr:4 row_mask:0xf bank_mask:0xf// 000000016FA0: 7E8002FA FF01142A
	v_mov_b32_dpp v65, v42 row_shl:4 row_mask:0xf bank_mask:0xf// 000000016FA8: 7E8202FA FF01042A
	v_cndmask_b32_e64 v248, v42, v64, s[44:45]                 // 000000016FB0: D10000F8 00B2812A
	v_cndmask_b32_e64 v249, v65, v42, s[44:45]                 // 000000016FB8: D10000F9 00B25541
	v_mov_b32_dpp v64, v248 row_shr:8 row_mask:0xf bank_mask:0xf// 000000016FC0: 7E8002FA FF0118F8
	v_mov_b32_dpp v65, v248 row_shl:8 row_mask:0xf bank_mask:0xf// 000000016FC8: 7E8202FA FF0108F8
	v_mov_b32_dpp v66, v249 row_shr:8 row_mask:0xf bank_mask:0xf// 000000016FD0: 7E8402FA FF0118F9
	v_mov_b32_dpp v67, v249 row_shl:8 row_mask:0xf bank_mask:0xf// 000000016FD8: 7E8602FA FF0108F9
	v_mov_b32_e32 v68, v248                                    // 000000016FE0: 7E8803F8
	v_mov_b32_e32 v69, v249                                    // 000000016FE4: 7E8A03F9
	v_cndmask_b32_e64 v248, v68, v64, s[42:43]                 // 000000016FE8: D10000F8 00AA8144
	v_cndmask_b32_e64 v250, v68, v65, s[78:79]                 // 000000016FF0: D10000FA 013A8344
	v_cndmask_b32_e64 v249, v69, v66, s[42:43]                 // 000000016FF8: D10000F9 00AA8545
	v_cndmask_b32_e64 v251, v69, v67, s[78:79]                 // 000000017000: D10000FB 013A8745
	v_mov_b32_dpp v64, v57 row_shr:4 row_mask:0xf bank_mask:0xf// 000000017008: 7E8002FA FF011439
	v_mov_b32_dpp v65, v57 row_shl:4 row_mask:0xf bank_mask:0xf// 000000017010: 7E8202FA FF010439
	v_cndmask_b32_e64 v252, v57, v64, s[44:45]                 // 000000017018: D10000FC 00B28139
	v_cndmask_b32_e64 v253, v65, v57, s[44:45]                 // 000000017020: D10000FD 00B27341
	v_mov_b32_dpp v64, v252 row_shr:8 row_mask:0xf bank_mask:0xf// 000000017028: 7E8002FA FF0118FC
	v_mov_b32_dpp v65, v252 row_shl:8 row_mask:0xf bank_mask:0xf// 000000017030: 7E8202FA FF0108FC
	v_mov_b32_dpp v66, v253 row_shr:8 row_mask:0xf bank_mask:0xf// 000000017038: 7E8402FA FF0118FD
	v_mov_b32_dpp v67, v253 row_shl:8 row_mask:0xf bank_mask:0xf// 000000017040: 7E8602FA FF0108FD
	v_mov_b32_e32 v68, v252                                    // 000000017048: 7E8803FC
	v_mov_b32_e32 v69, v253                                    // 00000001704C: 7E8A03FD
	v_cndmask_b32_e64 v252, v68, v64, s[42:43]                 // 000000017050: D10000FC 00AA8144
	v_cndmask_b32_e64 v254, v68, v65, s[78:79]                 // 000000017058: D10000FE 013A8344
	v_cndmask_b32_e64 v253, v69, v66, s[42:43]                 // 000000017060: D10000FD 00AA8545
	v_cndmask_b32_e64 v255, v69, v67, s[78:79]                 // 000000017068: D10000FF 013A8745
	v_cvt_f32_i32_e32 v128, v128                               // 000000017070: 7F000B80
	v_cvt_f32_i32_e32 v129, v129                               // 000000017074: 7F020B81
	v_cvt_f32_i32_e32 v130, v130                               // 000000017078: 7F040B82
	v_cvt_f32_i32_e32 v131, v131                               // 00000001707C: 7F060B83
	v_cvt_f32_i32_e32 v132, v132                               // 000000017080: 7F080B84
	v_cvt_f32_i32_e32 v133, v133                               // 000000017084: 7F0A0B85
	v_cvt_f32_i32_e32 v134, v134                               // 000000017088: 7F0C0B86
	v_cvt_f32_i32_e32 v135, v135                               // 00000001708C: 7F0E0B87
	v_cvt_f32_i32_e32 v136, v136                               // 000000017090: 7F100B88
	v_cvt_f32_i32_e32 v137, v137                               // 000000017094: 7F120B89
	v_cvt_f32_i32_e32 v138, v138                               // 000000017098: 7F140B8A
	v_cvt_f32_i32_e32 v139, v139                               // 00000001709C: 7F160B8B
	v_cvt_f32_i32_e32 v140, v140                               // 0000000170A0: 7F180B8C
	v_cvt_f32_i32_e32 v141, v141                               // 0000000170A4: 7F1A0B8D
	v_cvt_f32_i32_e32 v142, v142                               // 0000000170A8: 7F1C0B8E
	v_cvt_f32_i32_e32 v143, v143                               // 0000000170AC: 7F1E0B8F
	v_mul_f32_e32 v128, v19, v128                              // 0000000170B0: 0B010113
	v_mul_f32_e32 v129, v19, v129                              // 0000000170B4: 0B030313
	v_mul_f32_e32 v130, v19, v130                              // 0000000170B8: 0B050513
	v_mul_f32_e32 v131, v19, v131                              // 0000000170BC: 0B070713
	v_mul_f32_e32 v132, v19, v132                              // 0000000170C0: 0B090913
	v_mul_f32_e32 v133, v19, v133                              // 0000000170C4: 0B0B0B13
	v_mul_f32_e32 v134, v19, v134                              // 0000000170C8: 0B0D0D13
	v_mul_f32_e32 v135, v19, v135                              // 0000000170CC: 0B0F0F13
	v_mul_f32_e32 v136, v19, v136                              // 0000000170D0: 0B111113
	v_mul_f32_e32 v137, v19, v137                              // 0000000170D4: 0B131313
	v_mul_f32_e32 v138, v19, v138                              // 0000000170D8: 0B151513
	v_mul_f32_e32 v139, v19, v139                              // 0000000170DC: 0B171713
	v_mul_f32_e32 v140, v19, v140                              // 0000000170E0: 0B191913
	v_mul_f32_e32 v141, v19, v141                              // 0000000170E4: 0B1B1B13
	v_mul_f32_e32 v142, v19, v142                              // 0000000170E8: 0B1D1D13
	v_mul_f32_e32 v143, v19, v143                              // 0000000170EC: 0B1F1F13
	v_mul_f32_dpp v128, v248, v128 quad_perm:[0,0,0,0] row_mask:0xf bank_mask:0xf// 0000000170F0: 0B0100FA FF0000F8
	v_mul_f32_dpp v129, v248, v129 quad_perm:[1,1,1,1] row_mask:0xf bank_mask:0xf// 0000000170F8: 0B0302FA FF0055F8
	v_mul_f32_dpp v130, v248, v130 quad_perm:[2,2,2,2] row_mask:0xf bank_mask:0xf// 000000017100: 0B0504FA FF00AAF8
	v_mul_f32_dpp v131, v248, v131 quad_perm:[3,3,3,3] row_mask:0xf bank_mask:0xf// 000000017108: 0B0706FA FF00FFF8
	v_mul_f32_dpp v132, v249, v132 quad_perm:[0,0,0,0] row_mask:0xf bank_mask:0xf// 000000017110: 0B0908FA FF0000F9
	v_mul_f32_dpp v133, v249, v133 quad_perm:[1,1,1,1] row_mask:0xf bank_mask:0xf// 000000017118: 0B0B0AFA FF0055F9
	v_mul_f32_dpp v134, v249, v134 quad_perm:[2,2,2,2] row_mask:0xf bank_mask:0xf// 000000017120: 0B0D0CFA FF00AAF9
	v_mul_f32_dpp v135, v249, v135 quad_perm:[3,3,3,3] row_mask:0xf bank_mask:0xf// 000000017128: 0B0F0EFA FF00FFF9
	v_mul_f32_dpp v136, v250, v136 quad_perm:[0,0,0,0] row_mask:0xf bank_mask:0xf// 000000017130: 0B1110FA FF0000FA
	v_mul_f32_dpp v137, v250, v137 quad_perm:[1,1,1,1] row_mask:0xf bank_mask:0xf// 000000017138: 0B1312FA FF0055FA
	v_mul_f32_dpp v138, v250, v138 quad_perm:[2,2,2,2] row_mask:0xf bank_mask:0xf// 000000017140: 0B1514FA FF00AAFA
	v_mul_f32_dpp v139, v250, v139 quad_perm:[3,3,3,3] row_mask:0xf bank_mask:0xf// 000000017148: 0B1716FA FF00FFFA
	v_mul_f32_dpp v140, v251, v140 quad_perm:[0,0,0,0] row_mask:0xf bank_mask:0xf// 000000017150: 0B1918FA FF0000FB
	v_mul_f32_dpp v141, v251, v141 quad_perm:[1,1,1,1] row_mask:0xf bank_mask:0xf// 000000017158: 0B1B1AFA FF0055FB
	v_mul_f32_dpp v142, v251, v142 quad_perm:[2,2,2,2] row_mask:0xf bank_mask:0xf// 000000017160: 0B1D1CFA FF00AAFB
	v_mul_f32_dpp v143, v251, v143 quad_perm:[3,3,3,3] row_mask:0xf bank_mask:0xf// 000000017168: 0B1F1EFA FF00FFFB
	s_and_b32 s60, s72, 0xff                                   // 000000017170: 863CFF48 000000FF
	v_mov_b32_e32 v65, s60                                     // 000000017178: 7E82023C
	v_lshrrev_b32_e32 v240, 4, v0                              // 00000001717C: 21E00084
	v_mul_i32_i24_e32 v240, 4, v240                            // 000000017180: 0DE1E084
	s_mul_i32 s60, s7, 16                                      // 000000017184: 923C9007
	v_add_u32_e32 v240, s60, v240                              // 000000017188: 69E1E03C
	v_add_u32_e32 v241, 1, v240                                // 00000001718C: 69E3E081
	v_add_u32_e32 v242, 2, v240                                // 000000017190: 69E5E082
	v_add_u32_e32 v243, 3, v240                                // 000000017194: 69E7E083
	v_mov_b32_e32 v64, 0xff800000                              // 000000017198: 7E8002FF FF800000
	v_cmp_lt_u32_e64 s[40:41], v240, v65                       // 0000000171A0: D0C90028 000283F0
	v_add_u32_e32 v240, 64, v240                               // 0000000171A8: 69E1E0C0
	s_nop 0                                                    // 0000000171AC: BF800000
	v_cndmask_b32_e64 v128, v64, v128, s[40:41]                // 0000000171B0: D1000080 00A30140
	v_cmp_lt_u32_e64 s[40:41], v241, v65                       // 0000000171B8: D0C90028 000283F1
	v_add_u32_e32 v241, 64, v241                               // 0000000171C0: 69E3E2C0
	s_nop 0                                                    // 0000000171C4: BF800000
	v_cndmask_b32_e64 v129, v64, v129, s[40:41]                // 0000000171C8: D1000081 00A30340
	v_cmp_lt_u32_e64 s[40:41], v242, v65                       // 0000000171D0: D0C90028 000283F2
	v_add_u32_e32 v242, 64, v242                               // 0000000171D8: 69E5E4C0
	s_nop 0                                                    // 0000000171DC: BF800000
	v_cndmask_b32_e64 v130, v64, v130, s[40:41]                // 0000000171E0: D1000082 00A30540
	v_cmp_lt_u32_e64 s[40:41], v243, v65                       // 0000000171E8: D0C90028 000283F3
	v_add_u32_e32 v243, 64, v243                               // 0000000171F0: 69E7E6C0
	s_nop 0                                                    // 0000000171F4: BF800000
	v_cndmask_b32_e64 v131, v64, v131, s[40:41]                // 0000000171F8: D1000083 00A30740
	v_cmp_lt_u32_e64 s[40:41], v240, v65                       // 000000017200: D0C90028 000283F0
	v_add_u32_e32 v240, 64, v240                               // 000000017208: 69E1E0C0
	s_nop 0                                                    // 00000001720C: BF800000
	v_cndmask_b32_e64 v132, v64, v132, s[40:41]                // 000000017210: D1000084 00A30940
	v_cmp_lt_u32_e64 s[40:41], v241, v65                       // 000000017218: D0C90028 000283F1
	v_add_u32_e32 v241, 64, v241                               // 000000017220: 69E3E2C0
	s_nop 0                                                    // 000000017224: BF800000
	v_cndmask_b32_e64 v133, v64, v133, s[40:41]                // 000000017228: D1000085 00A30B40
	v_cmp_lt_u32_e64 s[40:41], v242, v65                       // 000000017230: D0C90028 000283F2
	v_add_u32_e32 v242, 64, v242                               // 000000017238: 69E5E4C0
	s_nop 0                                                    // 00000001723C: BF800000
	v_cndmask_b32_e64 v134, v64, v134, s[40:41]                // 000000017240: D1000086 00A30D40
	v_cmp_lt_u32_e64 s[40:41], v243, v65                       // 000000017248: D0C90028 000283F3
	v_add_u32_e32 v243, 64, v243                               // 000000017250: 69E7E6C0
	s_nop 0                                                    // 000000017254: BF800000
	v_cndmask_b32_e64 v135, v64, v135, s[40:41]                // 000000017258: D1000087 00A30F40
	v_cmp_lt_u32_e64 s[40:41], v240, v65                       // 000000017260: D0C90028 000283F0
	v_add_u32_e32 v240, 64, v240                               // 000000017268: 69E1E0C0
	s_nop 0                                                    // 00000001726C: BF800000
	v_cndmask_b32_e64 v136, v64, v136, s[40:41]                // 000000017270: D1000088 00A31140
	v_cmp_lt_u32_e64 s[40:41], v241, v65                       // 000000017278: D0C90028 000283F1
	v_add_u32_e32 v241, 64, v241                               // 000000017280: 69E3E2C0
	s_nop 0                                                    // 000000017284: BF800000
	v_cndmask_b32_e64 v137, v64, v137, s[40:41]                // 000000017288: D1000089 00A31340
	v_cmp_lt_u32_e64 s[40:41], v242, v65                       // 000000017290: D0C90028 000283F2
	v_add_u32_e32 v242, 64, v242                               // 000000017298: 69E5E4C0
	s_nop 0                                                    // 00000001729C: BF800000
	v_cndmask_b32_e64 v138, v64, v138, s[40:41]                // 0000000172A0: D100008A 00A31540
	v_cmp_lt_u32_e64 s[40:41], v243, v65                       // 0000000172A8: D0C90028 000283F3
	v_add_u32_e32 v243, 64, v243                               // 0000000172B0: 69E7E6C0
	s_nop 0                                                    // 0000000172B4: BF800000
	v_cndmask_b32_e64 v139, v64, v139, s[40:41]                // 0000000172B8: D100008B 00A31740
	v_cmp_lt_u32_e64 s[40:41], v240, v65                       // 0000000172C0: D0C90028 000283F0
	v_add_u32_e32 v240, 64, v240                               // 0000000172C8: 69E1E0C0
	s_nop 0                                                    // 0000000172CC: BF800000
	v_cndmask_b32_e64 v140, v64, v140, s[40:41]                // 0000000172D0: D100008C 00A31940
	v_cmp_lt_u32_e64 s[40:41], v241, v65                       // 0000000172D8: D0C90028 000283F1
	v_add_u32_e32 v241, 64, v241                               // 0000000172E0: 69E3E2C0
	s_nop 0                                                    // 0000000172E4: BF800000
	v_cndmask_b32_e64 v141, v64, v141, s[40:41]                // 0000000172E8: D100008D 00A31B40
	v_cmp_lt_u32_e64 s[40:41], v242, v65                       // 0000000172F0: D0C90028 000283F2
	v_add_u32_e32 v242, 64, v242                               // 0000000172F8: 69E5E4C0
	s_nop 0                                                    // 0000000172FC: BF800000
	v_cndmask_b32_e64 v142, v64, v142, s[40:41]                // 000000017300: D100008E 00A31D40
	v_cmp_lt_u32_e64 s[40:41], v243, v65                       // 000000017308: D0C90028 000283F3
	v_add_u32_e32 v243, 64, v243                               // 000000017310: 69E7E6C0
	s_nop 0                                                    // 000000017314: BF800000
	v_cndmask_b32_e64 v143, v64, v143, s[40:41]                // 000000017318: D100008F 00A31F40
	v_mov_b32_e32 v48, v128                                    // 000000017320: 7E600380
	v_max3_f32 v48, v128, v129, v48                            // 000000017324: D1D30030 04C30380
	v_max3_f32 v48, v130, v131, v48                            // 00000001732C: D1D30030 04C30782
	v_max3_f32 v48, v132, v133, v48                            // 000000017334: D1D30030 04C30B84
	v_max3_f32 v48, v134, v135, v48                            // 00000001733C: D1D30030 04C30F86
	v_max3_f32 v48, v136, v137, v48                            // 000000017344: D1D30030 04C31388
	v_max3_f32 v48, v138, v139, v48                            // 00000001734C: D1D30030 04C3178A
	v_max3_f32 v48, v140, v141, v48                            // 000000017354: D1D30030 04C31B8C
	v_max3_f32 v48, v142, v143, v48                            // 00000001735C: D1D30030 04C31F8E
	ds_write_b32 v8, v48 offset:16896                          // 000000017364: D81A4200 00003008
	v_mul_f32_e32 v216, v50, v216                              // 00000001736C: 0BB1B132
	v_mul_f32_e32 v217, v50, v217                              // 000000017370: 0BB3B332
	v_mul_f32_e32 v218, v50, v218                              // 000000017374: 0BB5B532
	v_mul_f32_e32 v219, v50, v219                              // 000000017378: 0BB7B732
	v_mul_f32_e32 v220, v50, v220                              // 00000001737C: 0BB9B932
	v_mul_f32_e32 v221, v50, v221                              // 000000017380: 0BBBBB32
	v_mul_f32_e32 v222, v50, v222                              // 000000017384: 0BBDBD32
	v_mul_f32_e32 v223, v50, v223                              // 000000017388: 0BBFBF32
	s_waitcnt lgkmcnt(0)                                       // 00000001738C: BF8CC07F
	s_barrier                                                  // 000000017390: BF8A0000
	ds_read_b32 v64, v7 offset:16896                           // 000000017394: D86C4200 40000007
	ds_read_b32 v65, v7 offset:16960                           // 00000001739C: D86C4240 41000007
	ds_read_b32 v66, v7 offset:17024                           // 0000000173A4: D86C4280 42000007
	ds_read_b32 v67, v7 offset:17088                           // 0000000173AC: D86C42C0 43000007
	ds_read_b32 v68, v7 offset:17152                           // 0000000173B4: D86C4300 44000007
	ds_read_b32 v69, v7 offset:17216                           // 0000000173BC: D86C4340 45000007
	ds_read_b32 v70, v7 offset:17280                           // 0000000173C4: D86C4380 46000007
	ds_read_b32 v71, v7 offset:17344                           // 0000000173CC: D86C43C0 47000007
	ds_read_b32 v72, v7 offset:17408                           // 0000000173D4: D86C4400 48000007
	ds_read_b32 v73, v7 offset:17472                           // 0000000173DC: D86C4440 49000007
	ds_read_b32 v74, v7 offset:17536                           // 0000000173E4: D86C4480 4A000007
	ds_read_b32 v75, v7 offset:17600                           // 0000000173EC: D86C44C0 4B000007
	ds_read_b32 v76, v7 offset:17664                           // 0000000173F4: D86C4500 4C000007
	ds_read_b32 v77, v7 offset:17728                           // 0000000173FC: D86C4540 4D000007
	ds_read_b32 v78, v7 offset:17792                           // 000000017404: D86C4580 4E000007
	ds_read_b32 v79, v7 offset:17856                           // 00000001740C: D86C45C0 4F000007
	v_cvt_f32_i32_e32 v184, v184                               // 000000017414: 7F700BB8
	v_cvt_f32_i32_e32 v185, v185                               // 000000017418: 7F720BB9
	v_cvt_f32_i32_e32 v186, v186                               // 00000001741C: 7F740BBA
	v_cvt_f32_i32_e32 v187, v187                               // 000000017420: 7F760BBB
	v_cvt_f32_i32_e32 v188, v188                               // 000000017424: 7F780BBC
	v_cvt_f32_i32_e32 v189, v189                               // 000000017428: 7F7A0BBD
	v_cvt_f32_i32_e32 v190, v190                               // 00000001742C: 7F7C0BBE
	v_cvt_f32_i32_e32 v191, v191                               // 000000017430: 7F7E0BBF
	v_mul_f32_e32 v184, v45, v184                              // 000000017434: 0B71712D
	v_mul_f32_e32 v185, v45, v185                              // 000000017438: 0B73732D
	v_mul_f32_e32 v186, v45, v186                              // 00000001743C: 0B75752D
	v_mul_f32_e32 v187, v45, v187                              // 000000017440: 0B77772D
	v_mul_f32_e32 v188, v45, v188                              // 000000017444: 0B79792D
	v_mul_f32_e32 v189, v45, v189                              // 000000017448: 0B7B7B2D
	v_mul_f32_e32 v190, v45, v190                              // 00000001744C: 0B7D7D2D
	v_mul_f32_e32 v191, v45, v191                              // 000000017450: 0B7F7F2D
	s_waitcnt lgkmcnt(0)                                       // 000000017454: BF8CC07F
	v_max3_f32 v48, v64, v65, v48                              // 000000017458: D1D30030 04C28340
	v_max3_f32 v48, v66, v67, v48                              // 000000017460: D1D30030 04C28742
	v_max3_f32 v48, v68, v69, v48                              // 000000017468: D1D30030 04C28B44
	v_max3_f32 v48, v70, v71, v48                              // 000000017470: D1D30030 04C28F46
	v_max3_f32 v48, v72, v73, v48                              // 000000017478: D1D30030 04C29348
	v_max3_f32 v48, v74, v75, v48                              // 000000017480: D1D30030 04C2974A
	v_max3_f32 v48, v76, v77, v48                              // 000000017488: D1D30030 04C29B4C
	v_max3_f32 v48, v78, v79, v48                              // 000000017490: D1D30030 04C29F4E
	v_mov_b32_e32 v64, 0xff800000                              // 000000017498: 7E8002FF FF800000
	v_cmp_eq_u32_e64 s[40:41], v64, v12                        // 0000000174A0: D0CA0028 00021940
	s_nop 1                                                    // 0000000174A8: BF800001
	v_max_f32_e32 v15, v48, v12                                // 0000000174AC: 161E1930
	v_mul_f32_e32 v53, s64, v15                                // 0000000174B0: 0A6A1E40
	v_fma_f32 v128, v128, s64, -v53                            // 0000000174B4: D1CB0080 84D48180
	v_fma_f32 v129, v129, s64, -v53                            // 0000000174BC: D1CB0081 84D48181
	v_fma_f32 v130, v130, s64, -v53                            // 0000000174C4: D1CB0082 84D48182
	v_fma_f32 v131, v131, s64, -v53                            // 0000000174CC: D1CB0083 84D48183
	v_fma_f32 v132, v132, s64, -v53                            // 0000000174D4: D1CB0084 84D48184
	v_fma_f32 v133, v133, s64, -v53                            // 0000000174DC: D1CB0085 84D48185
	v_fma_f32 v134, v134, s64, -v53                            // 0000000174E4: D1CB0086 84D48186
	v_fma_f32 v135, v135, s64, -v53                            // 0000000174EC: D1CB0087 84D48187
	v_fma_f32 v136, v136, s64, -v53                            // 0000000174F4: D1CB0088 84D48188
	v_fma_f32 v137, v137, s64, -v53                            // 0000000174FC: D1CB0089 84D48189
	v_fma_f32 v138, v138, s64, -v53                            // 000000017504: D1CB008A 84D4818A
	v_fma_f32 v139, v139, s64, -v53                            // 00000001750C: D1CB008B 84D4818B
	v_fma_f32 v140, v140, s64, -v53                            // 000000017514: D1CB008C 84D4818C
	v_fma_f32 v141, v141, s64, -v53                            // 00000001751C: D1CB008D 84D4818D
	v_fma_f32 v142, v142, s64, -v53                            // 000000017524: D1CB008E 84D4818E
	v_fma_f32 v143, v143, s64, -v53                            // 00000001752C: D1CB008F 84D4818F
	v_exp_f32_e32 v128, v128                                   // 000000017534: 7F004180
	v_exp_f32_e32 v129, v129                                   // 000000017538: 7F024181
	v_exp_f32_e32 v130, v130                                   // 00000001753C: 7F044182
	v_exp_f32_e32 v131, v131                                   // 000000017540: 7F064183
	v_exp_f32_e32 v132, v132                                   // 000000017544: 7F084184
	v_exp_f32_e32 v133, v133                                   // 000000017548: 7F0A4185
	v_exp_f32_e32 v134, v134                                   // 00000001754C: 7F0C4186
	v_exp_f32_e32 v135, v135                                   // 000000017550: 7F0E4187
	v_exp_f32_e32 v136, v136                                   // 000000017554: 7F104188
	v_exp_f32_e32 v137, v137                                   // 000000017558: 7F124189
	v_exp_f32_e32 v138, v138                                   // 00000001755C: 7F14418A
	v_exp_f32_e32 v139, v139                                   // 000000017560: 7F16418B
	v_exp_f32_e32 v140, v140                                   // 000000017564: 7F18418C
	v_exp_f32_e32 v141, v141                                   // 000000017568: 7F1A418D
	v_exp_f32_e32 v142, v142                                   // 00000001756C: 7F1C418E
	v_exp_f32_e32 v143, v143                                   // 000000017570: 7F1E418F
	v_mul_f32_dpp v240, v252, v128 quad_perm:[0,0,0,0] row_mask:0xf bank_mask:0xf// 000000017574: 0BE100FA FF0000FC
	v_mul_f32_dpp v241, v252, v129 quad_perm:[1,1,1,1] row_mask:0xf bank_mask:0xf// 00000001757C: 0BE302FA FF0055FC
	v_mul_f32_dpp v242, v252, v130 quad_perm:[2,2,2,2] row_mask:0xf bank_mask:0xf// 000000017584: 0BE504FA FF00AAFC
	v_mul_f32_dpp v243, v252, v131 quad_perm:[3,3,3,3] row_mask:0xf bank_mask:0xf// 00000001758C: 0BE706FA FF00FFFC
	v_mul_f32_dpp v244, v253, v132 quad_perm:[0,0,0,0] row_mask:0xf bank_mask:0xf// 000000017594: 0BE908FA FF0000FD
	v_mul_f32_dpp v245, v253, v133 quad_perm:[1,1,1,1] row_mask:0xf bank_mask:0xf// 00000001759C: 0BEB0AFA FF0055FD
	v_mul_f32_dpp v246, v253, v134 quad_perm:[2,2,2,2] row_mask:0xf bank_mask:0xf// 0000000175A4: 0BED0CFA FF00AAFD
	v_mul_f32_dpp v247, v253, v135 quad_perm:[3,3,3,3] row_mask:0xf bank_mask:0xf// 0000000175AC: 0BEF0EFA FF00FFFD
	v_mul_f32_dpp v248, v254, v136 quad_perm:[0,0,0,0] row_mask:0xf bank_mask:0xf// 0000000175B4: 0BF110FA FF0000FE
	v_mul_f32_dpp v249, v254, v137 quad_perm:[1,1,1,1] row_mask:0xf bank_mask:0xf// 0000000175BC: 0BF312FA FF0055FE
	v_mul_f32_dpp v250, v254, v138 quad_perm:[2,2,2,2] row_mask:0xf bank_mask:0xf// 0000000175C4: 0BF514FA FF00AAFE
	v_mul_f32_dpp v251, v254, v139 quad_perm:[3,3,3,3] row_mask:0xf bank_mask:0xf// 0000000175CC: 0BF716FA FF00FFFE
	v_mul_f32_dpp v252, v255, v140 quad_perm:[0,0,0,0] row_mask:0xf bank_mask:0xf// 0000000175D4: 0BF918FA FF0000FF
	v_mul_f32_dpp v253, v255, v141 quad_perm:[1,1,1,1] row_mask:0xf bank_mask:0xf// 0000000175DC: 0BFB1AFA FF0055FF
	v_mul_f32_dpp v254, v255, v142 quad_perm:[2,2,2,2] row_mask:0xf bank_mask:0xf// 0000000175E4: 0BFD1CFA FF00AAFF
	v_mul_f32_dpp v255, v255, v143 quad_perm:[3,3,3,3] row_mask:0xf bank_mask:0xf// 0000000175EC: 0BFF1EFA FF00FFFF
	v_mov_b32_e32 v48, 0x358637bd                              // 0000000175F4: 7E6002FF 358637BD
	v_max3_f32 v48, |v240|, |v241|, v48                        // 0000000175FC: D1D30330 04C3E3F0
	v_max3_f32 v48, |v242|, |v243|, v48                        // 000000017604: D1D30330 04C3E7F2
	v_max3_f32 v48, |v244|, |v245|, v48                        // 00000001760C: D1D30330 04C3EBF4
	v_max3_f32 v48, |v246|, |v247|, v48                        // 000000017614: D1D30330 04C3EFF6
	v_max3_f32 v48, |v248|, |v249|, v48                        // 00000001761C: D1D30330 04C3F3F8
	v_max3_f32 v48, |v250|, |v251|, v48                        // 000000017624: D1D30330 04C3F7FA
	v_max3_f32 v48, |v252|, |v253|, v48                        // 00000001762C: D1D30330 04C3FBFC
	v_max3_f32 v48, |v254|, |v255|, v48                        // 000000017634: D1D30330 04C3FFFE
	ds_write_b32 v8, v48 offset:20992                          // 00000001763C: D81A5200 00003008
	v_sub_f32_e32 v50, v12, v15                                // 000000017644: 04641F0C
	v_cndmask_b32_e64 v50, v50, 0, s[40:41]                    // 000000017648: D1000032 00A10132
	v_mov_b32_e32 v12, v15                                     // 000000017650: 7E18030F
	v_mul_f32_e32 v50, s64, v50                                // 000000017654: 0A646440
	v_exp_f32_e32 v50, v50                                     // 000000017658: 7E644132
	s_waitcnt lgkmcnt(0)                                       // 00000001765C: BF8CC07F
	s_barrier                                                  // 000000017660: BF8A0000
	ds_read_b32 v64, v7 offset:20992                           // 000000017664: D86C5200 40000007
	ds_read_b32 v65, v7 offset:21056                           // 00000001766C: D86C5240 41000007
	ds_read_b32 v66, v7 offset:21120                           // 000000017674: D86C5280 42000007
	ds_read_b32 v67, v7 offset:21184                           // 00000001767C: D86C52C0 43000007
	ds_read_b32 v68, v7 offset:21248                           // 000000017684: D86C5300 44000007
	ds_read_b32 v69, v7 offset:21312                           // 00000001768C: D86C5340 45000007
	ds_read_b32 v70, v7 offset:21376                           // 000000017694: D86C5380 46000007
	ds_read_b32 v71, v7 offset:21440                           // 00000001769C: D86C53C0 47000007
	ds_read_b32 v72, v7 offset:21504                           // 0000000176A4: D86C5400 48000007
	ds_read_b32 v73, v7 offset:21568                           // 0000000176AC: D86C5440 49000007
	ds_read_b32 v74, v7 offset:21632                           // 0000000176B4: D86C5480 4A000007
	ds_read_b32 v75, v7 offset:21696                           // 0000000176BC: D86C54C0 4B000007
	ds_read_b32 v76, v7 offset:21760                           // 0000000176C4: D86C5500 4C000007
	ds_read_b32 v77, v7 offset:21824                           // 0000000176CC: D86C5540 4D000007
	ds_read_b32 v78, v7 offset:21888                           // 0000000176D4: D86C5580 4E000007
	ds_read_b32 v79, v7 offset:21952                           // 0000000176DC: D86C55C0 4F000007
	v_mul_f32_e32 v39, v50, v39                                // 0000000176E4: 0A4E4F32
	v_mov_b32_e32 v15, v128                                    // 0000000176E8: 7E1E0380
	v_add_f32_e32 v15, v129, v15                               // 0000000176EC: 021E1F81
	v_add_f32_e32 v15, v130, v15                               // 0000000176F0: 021E1F82
	v_add_f32_e32 v15, v131, v15                               // 0000000176F4: 021E1F83
	v_add_f32_e32 v15, v132, v15                               // 0000000176F8: 021E1F84
	v_add_f32_e32 v15, v133, v15                               // 0000000176FC: 021E1F85
	v_add_f32_e32 v15, v134, v15                               // 000000017700: 021E1F86
	v_add_f32_e32 v15, v135, v15                               // 000000017704: 021E1F87
	v_add_f32_e32 v15, v136, v15                               // 000000017708: 021E1F88
	v_add_f32_e32 v15, v137, v15                               // 00000001770C: 021E1F89
	v_add_f32_e32 v15, v138, v15                               // 000000017710: 021E1F8A
	v_add_f32_e32 v15, v139, v15                               // 000000017714: 021E1F8B
	v_add_f32_e32 v15, v140, v15                               // 000000017718: 021E1F8C
	v_add_f32_e32 v15, v141, v15                               // 00000001771C: 021E1F8D
	v_add_f32_e32 v15, v142, v15                               // 000000017720: 021E1F8E
	v_add_f32_e32 v15, v143, v15                               // 000000017724: 021E1F8F
	v_add_f32_e32 v39, v15, v39                                // 000000017728: 024E4F0F
	s_waitcnt lgkmcnt(0)                                       // 00000001772C: BF8CC07F
	v_max3_f32 v48, |v64|, |v65|, v48                          // 000000017730: D1D30330 04C28340
	v_max3_f32 v48, |v66|, |v67|, v48                          // 000000017738: D1D30330 04C28742
	v_max3_f32 v48, |v68|, |v69|, v48                          // 000000017740: D1D30330 04C28B44
	v_max3_f32 v48, |v70|, |v71|, v48                          // 000000017748: D1D30330 04C28F46
	v_max3_f32 v48, |v72|, |v73|, v48                          // 000000017750: D1D30330 04C29348
	v_max3_f32 v48, |v74|, |v75|, v48                          // 000000017758: D1D30330 04C2974A
	v_max3_f32 v48, |v76|, |v77|, v48                          // 000000017760: D1D30330 04C29B4C
	v_max3_f32 v48, |v78|, |v79|, v48                          // 000000017768: D1D30330 04C29F4E
	s_nop 2                                                    // 000000017770: BF800002
	v_rcp_f32_e32 v48, v48                                     // 000000017774: 7E604530
	s_nop 1                                                    // 000000017778: BF800001
	v_mul_f32_e32 v48, 0x42fe0000, v48                         // 00000001777C: 0A6060FF 42FE0000
	v_mul_f32_e32 v128, v48, v240                              // 000000017784: 0B01E130
	v_mul_f32_e32 v129, v48, v241                              // 000000017788: 0B03E330
	v_mul_f32_e32 v130, v48, v242                              // 00000001778C: 0B05E530
	v_mul_f32_e32 v131, v48, v243                              // 000000017790: 0B07E730
	v_mul_f32_e32 v132, v48, v244                              // 000000017794: 0B09E930
	v_mul_f32_e32 v133, v48, v245                              // 000000017798: 0B0BEB30
	v_mul_f32_e32 v134, v48, v246                              // 00000001779C: 0B0DED30
	v_mul_f32_e32 v135, v48, v247                              // 0000000177A0: 0B0FEF30
	v_mul_f32_e32 v136, v48, v248                              // 0000000177A4: 0B11F130
	v_mul_f32_e32 v137, v48, v249                              // 0000000177A8: 0B13F330
	v_mul_f32_e32 v138, v48, v250                              // 0000000177AC: 0B15F530
	v_mul_f32_e32 v139, v48, v251                              // 0000000177B0: 0B17F730
	v_mul_f32_e32 v140, v48, v252                              // 0000000177B4: 0B19F930
	v_mul_f32_e32 v141, v48, v253                              // 0000000177B8: 0B1BFB30
	v_mul_f32_e32 v142, v48, v254                              // 0000000177BC: 0B1DFD30
	v_mul_f32_e32 v143, v48, v255                              // 0000000177C0: 0B1FFF30
	v_cvt_i32_f32_e32 v128, v128                               // 0000000177C4: 7F001180
	v_cvt_i32_f32_e32 v129, v129                               // 0000000177C8: 7F021181
	v_cvt_i32_f32_e32 v130, v130                               // 0000000177CC: 7F041182
	v_cvt_i32_f32_e32 v131, v131                               // 0000000177D0: 7F061183
	v_cvt_i32_f32_e32 v132, v132                               // 0000000177D4: 7F081184
	v_cvt_i32_f32_e32 v133, v133                               // 0000000177D8: 7F0A1185
	v_cvt_i32_f32_e32 v134, v134                               // 0000000177DC: 7F0C1186
	v_cvt_i32_f32_e32 v135, v135                               // 0000000177E0: 7F0E1187
	v_cvt_i32_f32_e32 v136, v136                               // 0000000177E4: 7F101188
	v_cvt_i32_f32_e32 v137, v137                               // 0000000177E8: 7F121189
	v_cvt_i32_f32_e32 v138, v138                               // 0000000177EC: 7F14118A
	v_cvt_i32_f32_e32 v139, v139                               // 0000000177F0: 7F16118B
	v_cvt_i32_f32_e32 v140, v140                               // 0000000177F4: 7F18118C
	v_cvt_i32_f32_e32 v141, v141                               // 0000000177F8: 7F1A118D
	v_cvt_i32_f32_e32 v142, v142                               // 0000000177FC: 7F1C118E
	v_cvt_i32_f32_e32 v143, v143                               // 000000017800: 7F1E118F
	v_perm_b32 v128, v129, v128, s53                           // 000000017804: D1ED0080 00D70181
	v_perm_b32 v128, v130, v128, s54                           // 00000001780C: D1ED0080 00DB0182
	v_perm_b32 v128, v131, v128, s55                           // 000000017814: D1ED0080 00DF0183
	v_perm_b32 v129, v133, v132, s53                           // 00000001781C: D1ED0081 00D70985
	v_perm_b32 v129, v134, v129, s54                           // 000000017824: D1ED0081 00DB0386
	v_perm_b32 v129, v135, v129, s55                           // 00000001782C: D1ED0081 00DF0387
	v_perm_b32 v130, v137, v136, s53                           // 000000017834: D1ED0082 00D71189
	v_perm_b32 v130, v138, v130, s54                           // 00000001783C: D1ED0082 00DB058A
	v_perm_b32 v130, v139, v130, s55                           // 000000017844: D1ED0082 00DF058B
	v_perm_b32 v131, v141, v140, s53                           // 00000001784C: D1ED0083 00D7198D
	v_perm_b32 v131, v142, v131, s54                           // 000000017854: D1ED0083 00DB078E
	v_perm_b32 v131, v143, v131, s55                           // 00000001785C: D1ED0083 00DF078F
	ds_write_b32 v10, v128 offset:29184                        // 000000017864: D81A7200 0000800A
	ds_write_b32 v10, v129 offset:30208                        // 00000001786C: D81A7600 0000810A
	ds_write_b32 v10, v130 offset:31232                        // 000000017874: D81A7A00 0000820A
	ds_write_b32 v10, v131 offset:32256                        // 00000001787C: D81A7E00 0000830A
	v_add_f32_e32 v216, v216, v184                             // 000000017884: 03B171D8
	v_add_f32_e32 v217, v217, v185                             // 000000017888: 03B373D9
	v_add_f32_e32 v218, v218, v186                             // 00000001788C: 03B575DA
	v_add_f32_e32 v219, v219, v187                             // 000000017890: 03B777DB
	v_add_f32_e32 v220, v220, v188                             // 000000017894: 03B979DC
	v_add_f32_e32 v221, v221, v189                             // 000000017898: 03BB7BDD
	v_add_f32_e32 v222, v222, v190                             // 00000001789C: 03BD7DDE
	v_add_f32_e32 v223, v223, v191                             // 0000000178A0: 03BF7FDF
	v_rcp_f32_e32 v45, v48                                     // 0000000178A4: 7E5A4530
	s_waitcnt lgkmcnt(0)                                       // 0000000178A8: BF8CC07F
	s_barrier                                                  // 0000000178AC: BF8A0000
	ds_read_b64 v[128:129], v9 offset:29184                    // 0000000178B0: D8EC7200 80000009
	ds_read_b64 v[130:131], v9 offset:29312                    // 0000000178B8: D8EC7280 82000009
	ds_read_b64 v[132:133], v9 offset:30208                    // 0000000178C0: D8EC7600 84000009
	ds_read_b64 v[134:135], v9 offset:30336                    // 0000000178C8: D8EC7680 86000009
	ds_read_b64 v[136:137], v9 offset:31232                    // 0000000178D0: D8EC7A00 88000009
	ds_read_b64 v[138:139], v9 offset:31360                    // 0000000178D8: D8EC7A80 8A000009
	ds_read_b64 v[140:141], v9 offset:32256                    // 0000000178E0: D8EC7E00 8C000009
	ds_read_b64 v[142:143], v9 offset:32384                    // 0000000178E8: D8EC7E80 8E000009
	v_mov_b32_dpp v64, v42 row_shr:4 row_mask:0xf bank_mask:0xf// 0000000178F0: 7E8002FA FF01142A
	v_mov_b32_dpp v65, v42 row_shl:4 row_mask:0xf bank_mask:0xf// 0000000178F8: 7E8202FA FF01042A
	v_cndmask_b32_e64 v248, v42, v64, s[44:45]                 // 000000017900: D10000F8 00B2812A
	v_cndmask_b32_e64 v249, v65, v42, s[44:45]                 // 000000017908: D10000F9 00B25541
	v_mov_b32_dpp v64, v248 row_shr:8 row_mask:0xf bank_mask:0xf// 000000017910: 7E8002FA FF0118F8
	v_mov_b32_dpp v65, v248 row_shl:8 row_mask:0xf bank_mask:0xf// 000000017918: 7E8202FA FF0108F8
	v_mov_b32_dpp v66, v249 row_shr:8 row_mask:0xf bank_mask:0xf// 000000017920: 7E8402FA FF0118F9
	v_mov_b32_dpp v67, v249 row_shl:8 row_mask:0xf bank_mask:0xf// 000000017928: 7E8602FA FF0108F9
	v_mov_b32_e32 v68, v248                                    // 000000017930: 7E8803F8
	v_mov_b32_e32 v69, v249                                    // 000000017934: 7E8A03F9
	v_cndmask_b32_e64 v248, v68, v64, s[42:43]                 // 000000017938: D10000F8 00AA8144
	v_cndmask_b32_e64 v250, v68, v65, s[78:79]                 // 000000017940: D10000FA 013A8344
	v_cndmask_b32_e64 v249, v69, v66, s[42:43]                 // 000000017948: D10000F9 00AA8545
	v_cndmask_b32_e64 v251, v69, v67, s[78:79]                 // 000000017950: D10000FB 013A8745
	v_mov_b32_dpp v64, v57 row_shr:4 row_mask:0xf bank_mask:0xf// 000000017958: 7E8002FA FF011439
	v_mov_b32_dpp v65, v57 row_shl:4 row_mask:0xf bank_mask:0xf// 000000017960: 7E8202FA FF010439
	v_cndmask_b32_e64 v252, v57, v64, s[44:45]                 // 000000017968: D10000FC 00B28139
	v_cndmask_b32_e64 v253, v65, v57, s[44:45]                 // 000000017970: D10000FD 00B27341
	v_mov_b32_dpp v64, v252 row_shr:8 row_mask:0xf bank_mask:0xf// 000000017978: 7E8002FA FF0118FC
	v_mov_b32_dpp v65, v252 row_shl:8 row_mask:0xf bank_mask:0xf// 000000017980: 7E8202FA FF0108FC
	v_mov_b32_dpp v66, v253 row_shr:8 row_mask:0xf bank_mask:0xf// 000000017988: 7E8402FA FF0118FD
	v_mov_b32_dpp v67, v253 row_shl:8 row_mask:0xf bank_mask:0xf// 000000017990: 7E8602FA FF0108FD
	v_mov_b32_e32 v68, v252                                    // 000000017998: 7E8803FC
	v_mov_b32_e32 v69, v253                                    // 00000001799C: 7E8A03FD
	v_cndmask_b32_e64 v252, v68, v64, s[42:43]                 // 0000000179A0: D10000FC 00AA8144
	v_cndmask_b32_e64 v254, v68, v65, s[78:79]                 // 0000000179A8: D10000FE 013A8344
	v_cndmask_b32_e64 v253, v69, v66, s[42:43]                 // 0000000179B0: D10000FD 00AA8545
	v_cndmask_b32_e64 v255, v69, v67, s[78:79]                 // 0000000179B8: D10000FF 013A8745
	v_cvt_f32_i32_e32 v144, v144                               // 0000000179C0: 7F200B90
	v_cvt_f32_i32_e32 v145, v145                               // 0000000179C4: 7F220B91
	v_cvt_f32_i32_e32 v146, v146                               // 0000000179C8: 7F240B92
	v_cvt_f32_i32_e32 v147, v147                               // 0000000179CC: 7F260B93
	v_cvt_f32_i32_e32 v148, v148                               // 0000000179D0: 7F280B94
	v_cvt_f32_i32_e32 v149, v149                               // 0000000179D4: 7F2A0B95
	v_cvt_f32_i32_e32 v150, v150                               // 0000000179D8: 7F2C0B96
	v_cvt_f32_i32_e32 v151, v151                               // 0000000179DC: 7F2E0B97
	v_cvt_f32_i32_e32 v152, v152                               // 0000000179E0: 7F300B98
	v_cvt_f32_i32_e32 v153, v153                               // 0000000179E4: 7F320B99
	v_cvt_f32_i32_e32 v154, v154                               // 0000000179E8: 7F340B9A
	v_cvt_f32_i32_e32 v155, v155                               // 0000000179EC: 7F360B9B
	v_cvt_f32_i32_e32 v156, v156                               // 0000000179F0: 7F380B9C
	v_cvt_f32_i32_e32 v157, v157                               // 0000000179F4: 7F3A0B9D
	v_cvt_f32_i32_e32 v158, v158                               // 0000000179F8: 7F3C0B9E
	v_cvt_f32_i32_e32 v159, v159                               // 0000000179FC: 7F3E0B9F
	v_mul_f32_e32 v144, v20, v144                              // 000000017A00: 0B212114
	v_mul_f32_e32 v145, v20, v145                              // 000000017A04: 0B232314
	v_mul_f32_e32 v146, v20, v146                              // 000000017A08: 0B252514
	v_mul_f32_e32 v147, v20, v147                              // 000000017A0C: 0B272714
	v_mul_f32_e32 v148, v20, v148                              // 000000017A10: 0B292914
	v_mul_f32_e32 v149, v20, v149                              // 000000017A14: 0B2B2B14
	v_mul_f32_e32 v150, v20, v150                              // 000000017A18: 0B2D2D14
	v_mul_f32_e32 v151, v20, v151                              // 000000017A1C: 0B2F2F14
	v_mul_f32_e32 v152, v20, v152                              // 000000017A20: 0B313114
	v_mul_f32_e32 v153, v20, v153                              // 000000017A24: 0B333314
	v_mul_f32_e32 v154, v20, v154                              // 000000017A28: 0B353514
	v_mul_f32_e32 v155, v20, v155                              // 000000017A2C: 0B373714
	v_mul_f32_e32 v156, v20, v156                              // 000000017A30: 0B393914
	v_mul_f32_e32 v157, v20, v157                              // 000000017A34: 0B3B3B14
	v_mul_f32_e32 v158, v20, v158                              // 000000017A38: 0B3D3D14
	v_mul_f32_e32 v159, v20, v159                              // 000000017A3C: 0B3F3F14
	v_mul_f32_dpp v144, v248, v144 quad_perm:[0,0,0,0] row_mask:0xf bank_mask:0xf// 000000017A40: 0B2120FA FF0000F8
	v_mul_f32_dpp v145, v248, v145 quad_perm:[1,1,1,1] row_mask:0xf bank_mask:0xf// 000000017A48: 0B2322FA FF0055F8
	v_mul_f32_dpp v146, v248, v146 quad_perm:[2,2,2,2] row_mask:0xf bank_mask:0xf// 000000017A50: 0B2524FA FF00AAF8
	v_mul_f32_dpp v147, v248, v147 quad_perm:[3,3,3,3] row_mask:0xf bank_mask:0xf// 000000017A58: 0B2726FA FF00FFF8
	v_mul_f32_dpp v148, v249, v148 quad_perm:[0,0,0,0] row_mask:0xf bank_mask:0xf// 000000017A60: 0B2928FA FF0000F9
	v_mul_f32_dpp v149, v249, v149 quad_perm:[1,1,1,1] row_mask:0xf bank_mask:0xf// 000000017A68: 0B2B2AFA FF0055F9
	v_mul_f32_dpp v150, v249, v150 quad_perm:[2,2,2,2] row_mask:0xf bank_mask:0xf// 000000017A70: 0B2D2CFA FF00AAF9
	v_mul_f32_dpp v151, v249, v151 quad_perm:[3,3,3,3] row_mask:0xf bank_mask:0xf// 000000017A78: 0B2F2EFA FF00FFF9
	v_mul_f32_dpp v152, v250, v152 quad_perm:[0,0,0,0] row_mask:0xf bank_mask:0xf// 000000017A80: 0B3130FA FF0000FA
	v_mul_f32_dpp v153, v250, v153 quad_perm:[1,1,1,1] row_mask:0xf bank_mask:0xf// 000000017A88: 0B3332FA FF0055FA
	v_mul_f32_dpp v154, v250, v154 quad_perm:[2,2,2,2] row_mask:0xf bank_mask:0xf// 000000017A90: 0B3534FA FF00AAFA
	v_mul_f32_dpp v155, v250, v155 quad_perm:[3,3,3,3] row_mask:0xf bank_mask:0xf// 000000017A98: 0B3736FA FF00FFFA
	v_mul_f32_dpp v156, v251, v156 quad_perm:[0,0,0,0] row_mask:0xf bank_mask:0xf// 000000017AA0: 0B3938FA FF0000FB
	v_mul_f32_dpp v157, v251, v157 quad_perm:[1,1,1,1] row_mask:0xf bank_mask:0xf// 000000017AA8: 0B3B3AFA FF0055FB
	v_mul_f32_dpp v158, v251, v158 quad_perm:[2,2,2,2] row_mask:0xf bank_mask:0xf// 000000017AB0: 0B3D3CFA FF00AAFB
	v_mul_f32_dpp v159, v251, v159 quad_perm:[3,3,3,3] row_mask:0xf bank_mask:0xf// 000000017AB8: 0B3F3EFA FF00FFFB
	s_and_b32 s60, s72, 0xff                                   // 000000017AC0: 863CFF48 000000FF
	v_mov_b32_e32 v65, s60                                     // 000000017AC8: 7E82023C
	v_lshrrev_b32_e32 v240, 4, v0                              // 000000017ACC: 21E00084
	v_mul_i32_i24_e32 v240, 4, v240                            // 000000017AD0: 0DE1E084
	s_mul_i32 s60, s7, 16                                      // 000000017AD4: 923C9007
	v_add_u32_e32 v240, s60, v240                              // 000000017AD8: 69E1E03C
	v_add_u32_e32 v241, 1, v240                                // 000000017ADC: 69E3E081
	v_add_u32_e32 v242, 2, v240                                // 000000017AE0: 69E5E082
	v_add_u32_e32 v243, 3, v240                                // 000000017AE4: 69E7E083
	v_mov_b32_e32 v64, 0xff800000                              // 000000017AE8: 7E8002FF FF800000
	v_cmp_lt_u32_e64 s[40:41], v240, v65                       // 000000017AF0: D0C90028 000283F0
	v_add_u32_e32 v240, 64, v240                               // 000000017AF8: 69E1E0C0
	s_nop 0                                                    // 000000017AFC: BF800000
	v_cndmask_b32_e64 v144, v64, v144, s[40:41]                // 000000017B00: D1000090 00A32140
	v_cmp_lt_u32_e64 s[40:41], v241, v65                       // 000000017B08: D0C90028 000283F1
	v_add_u32_e32 v241, 64, v241                               // 000000017B10: 69E3E2C0
	s_nop 0                                                    // 000000017B14: BF800000
	v_cndmask_b32_e64 v145, v64, v145, s[40:41]                // 000000017B18: D1000091 00A32340
	v_cmp_lt_u32_e64 s[40:41], v242, v65                       // 000000017B20: D0C90028 000283F2
	v_add_u32_e32 v242, 64, v242                               // 000000017B28: 69E5E4C0
	s_nop 0                                                    // 000000017B2C: BF800000
	v_cndmask_b32_e64 v146, v64, v146, s[40:41]                // 000000017B30: D1000092 00A32540
	v_cmp_lt_u32_e64 s[40:41], v243, v65                       // 000000017B38: D0C90028 000283F3
	v_add_u32_e32 v243, 64, v243                               // 000000017B40: 69E7E6C0
	s_nop 0                                                    // 000000017B44: BF800000
	v_cndmask_b32_e64 v147, v64, v147, s[40:41]                // 000000017B48: D1000093 00A32740
	v_cmp_lt_u32_e64 s[40:41], v240, v65                       // 000000017B50: D0C90028 000283F0
	v_add_u32_e32 v240, 64, v240                               // 000000017B58: 69E1E0C0
	s_nop 0                                                    // 000000017B5C: BF800000
	v_cndmask_b32_e64 v148, v64, v148, s[40:41]                // 000000017B60: D1000094 00A32940
	v_cmp_lt_u32_e64 s[40:41], v241, v65                       // 000000017B68: D0C90028 000283F1
	v_add_u32_e32 v241, 64, v241                               // 000000017B70: 69E3E2C0
	s_nop 0                                                    // 000000017B74: BF800000
	v_cndmask_b32_e64 v149, v64, v149, s[40:41]                // 000000017B78: D1000095 00A32B40
	v_cmp_lt_u32_e64 s[40:41], v242, v65                       // 000000017B80: D0C90028 000283F2
	v_add_u32_e32 v242, 64, v242                               // 000000017B88: 69E5E4C0
	s_nop 0                                                    // 000000017B8C: BF800000
	v_cndmask_b32_e64 v150, v64, v150, s[40:41]                // 000000017B90: D1000096 00A32D40
	v_cmp_lt_u32_e64 s[40:41], v243, v65                       // 000000017B98: D0C90028 000283F3
	v_add_u32_e32 v243, 64, v243                               // 000000017BA0: 69E7E6C0
	s_nop 0                                                    // 000000017BA4: BF800000
	v_cndmask_b32_e64 v151, v64, v151, s[40:41]                // 000000017BA8: D1000097 00A32F40
	v_cmp_lt_u32_e64 s[40:41], v240, v65                       // 000000017BB0: D0C90028 000283F0
	v_add_u32_e32 v240, 64, v240                               // 000000017BB8: 69E1E0C0
	s_nop 0                                                    // 000000017BBC: BF800000
	v_cndmask_b32_e64 v152, v64, v152, s[40:41]                // 000000017BC0: D1000098 00A33140
	v_cmp_lt_u32_e64 s[40:41], v241, v65                       // 000000017BC8: D0C90028 000283F1
	v_add_u32_e32 v241, 64, v241                               // 000000017BD0: 69E3E2C0
	s_nop 0                                                    // 000000017BD4: BF800000
	v_cndmask_b32_e64 v153, v64, v153, s[40:41]                // 000000017BD8: D1000099 00A33340
	v_cmp_lt_u32_e64 s[40:41], v242, v65                       // 000000017BE0: D0C90028 000283F2
	v_add_u32_e32 v242, 64, v242                               // 000000017BE8: 69E5E4C0
	s_nop 0                                                    // 000000017BEC: BF800000
	v_cndmask_b32_e64 v154, v64, v154, s[40:41]                // 000000017BF0: D100009A 00A33540
	v_cmp_lt_u32_e64 s[40:41], v243, v65                       // 000000017BF8: D0C90028 000283F3
	v_add_u32_e32 v243, 64, v243                               // 000000017C00: 69E7E6C0
	s_nop 0                                                    // 000000017C04: BF800000
	v_cndmask_b32_e64 v155, v64, v155, s[40:41]                // 000000017C08: D100009B 00A33740
	v_cmp_lt_u32_e64 s[40:41], v240, v65                       // 000000017C10: D0C90028 000283F0
	v_add_u32_e32 v240, 64, v240                               // 000000017C18: 69E1E0C0
	s_nop 0                                                    // 000000017C1C: BF800000
	v_cndmask_b32_e64 v156, v64, v156, s[40:41]                // 000000017C20: D100009C 00A33940
	v_cmp_lt_u32_e64 s[40:41], v241, v65                       // 000000017C28: D0C90028 000283F1
	v_add_u32_e32 v241, 64, v241                               // 000000017C30: 69E3E2C0
	s_nop 0                                                    // 000000017C34: BF800000
	v_cndmask_b32_e64 v157, v64, v157, s[40:41]                // 000000017C38: D100009D 00A33B40
	v_cmp_lt_u32_e64 s[40:41], v242, v65                       // 000000017C40: D0C90028 000283F2
	v_add_u32_e32 v242, 64, v242                               // 000000017C48: 69E5E4C0
	s_nop 0                                                    // 000000017C4C: BF800000
	v_cndmask_b32_e64 v158, v64, v158, s[40:41]                // 000000017C50: D100009E 00A33D40
	v_cmp_lt_u32_e64 s[40:41], v243, v65                       // 000000017C58: D0C90028 000283F3
	v_add_u32_e32 v243, 64, v243                               // 000000017C60: 69E7E6C0
	s_nop 0                                                    // 000000017C64: BF800000
	v_cndmask_b32_e64 v159, v64, v159, s[40:41]                // 000000017C68: D100009F 00A33F40
	v_mov_b32_e32 v48, v144                                    // 000000017C70: 7E600390
	v_max3_f32 v48, v144, v145, v48                            // 000000017C74: D1D30030 04C32390
	v_max3_f32 v48, v146, v147, v48                            // 000000017C7C: D1D30030 04C32792
	v_max3_f32 v48, v148, v149, v48                            // 000000017C84: D1D30030 04C32B94
	v_max3_f32 v48, v150, v151, v48                            // 000000017C8C: D1D30030 04C32F96
	v_max3_f32 v48, v152, v153, v48                            // 000000017C94: D1D30030 04C33398
	v_max3_f32 v48, v154, v155, v48                            // 000000017C9C: D1D30030 04C3379A
	v_max3_f32 v48, v156, v157, v48                            // 000000017CA4: D1D30030 04C33B9C
	v_max3_f32 v48, v158, v159, v48                            // 000000017CAC: D1D30030 04C33F9E
	ds_write_b32 v8, v48 offset:16896                          // 000000017CB4: D81A4200 00003008
	v_mul_f32_e32 v224, v51, v224                              // 000000017CBC: 0BC1C133
	v_mul_f32_e32 v225, v51, v225                              // 000000017CC0: 0BC3C333
	v_mul_f32_e32 v226, v51, v226                              // 000000017CC4: 0BC5C533
	v_mul_f32_e32 v227, v51, v227                              // 000000017CC8: 0BC7C733
	v_mul_f32_e32 v228, v51, v228                              // 000000017CCC: 0BC9C933
	v_mul_f32_e32 v229, v51, v229                              // 000000017CD0: 0BCBCB33
	v_mul_f32_e32 v230, v51, v230                              // 000000017CD4: 0BCDCD33
	v_mul_f32_e32 v231, v51, v231                              // 000000017CD8: 0BCFCF33
	s_waitcnt lgkmcnt(0)                                       // 000000017CDC: BF8CC07F
	s_barrier                                                  // 000000017CE0: BF8A0000
	ds_read_b32 v64, v7 offset:16896                           // 000000017CE4: D86C4200 40000007
	ds_read_b32 v65, v7 offset:16960                           // 000000017CEC: D86C4240 41000007
	ds_read_b32 v66, v7 offset:17024                           // 000000017CF4: D86C4280 42000007
	ds_read_b32 v67, v7 offset:17088                           // 000000017CFC: D86C42C0 43000007
	ds_read_b32 v68, v7 offset:17152                           // 000000017D04: D86C4300 44000007
	ds_read_b32 v69, v7 offset:17216                           // 000000017D0C: D86C4340 45000007
	ds_read_b32 v70, v7 offset:17280                           // 000000017D14: D86C4380 46000007
	ds_read_b32 v71, v7 offset:17344                           // 000000017D1C: D86C43C0 47000007
	ds_read_b32 v72, v7 offset:17408                           // 000000017D24: D86C4400 48000007
	ds_read_b32 v73, v7 offset:17472                           // 000000017D2C: D86C4440 49000007
	ds_read_b32 v74, v7 offset:17536                           // 000000017D34: D86C4480 4A000007
	ds_read_b32 v75, v7 offset:17600                           // 000000017D3C: D86C44C0 4B000007
	ds_read_b32 v76, v7 offset:17664                           // 000000017D44: D86C4500 4C000007
	ds_read_b32 v77, v7 offset:17728                           // 000000017D4C: D86C4540 4D000007
	ds_read_b32 v78, v7 offset:17792                           // 000000017D54: D86C4580 4E000007
	ds_read_b32 v79, v7 offset:17856                           // 000000017D5C: D86C45C0 4F000007
	v_cvt_f32_i32_e32 v192, v192                               // 000000017D64: 7F800BC0
	v_cvt_f32_i32_e32 v193, v193                               // 000000017D68: 7F820BC1
	v_cvt_f32_i32_e32 v194, v194                               // 000000017D6C: 7F840BC2
	v_cvt_f32_i32_e32 v195, v195                               // 000000017D70: 7F860BC3
	v_cvt_f32_i32_e32 v196, v196                               // 000000017D74: 7F880BC4
	v_cvt_f32_i32_e32 v197, v197                               // 000000017D78: 7F8A0BC5
	v_cvt_f32_i32_e32 v198, v198                               // 000000017D7C: 7F8C0BC6
	v_cvt_f32_i32_e32 v199, v199                               // 000000017D80: 7F8E0BC7
	v_mul_f32_e32 v192, v46, v192                              // 000000017D84: 0B81812E
	v_mul_f32_e32 v193, v46, v193                              // 000000017D88: 0B83832E
	v_mul_f32_e32 v194, v46, v194                              // 000000017D8C: 0B85852E
	v_mul_f32_e32 v195, v46, v195                              // 000000017D90: 0B87872E
	v_mul_f32_e32 v196, v46, v196                              // 000000017D94: 0B89892E
	v_mul_f32_e32 v197, v46, v197                              // 000000017D98: 0B8B8B2E
	v_mul_f32_e32 v198, v46, v198                              // 000000017D9C: 0B8D8D2E
	v_mul_f32_e32 v199, v46, v199                              // 000000017DA0: 0B8F8F2E
	s_waitcnt lgkmcnt(0)                                       // 000000017DA4: BF8CC07F
	v_max3_f32 v48, v64, v65, v48                              // 000000017DA8: D1D30030 04C28340
	v_max3_f32 v48, v66, v67, v48                              // 000000017DB0: D1D30030 04C28742
	v_max3_f32 v48, v68, v69, v48                              // 000000017DB8: D1D30030 04C28B44
	v_max3_f32 v48, v70, v71, v48                              // 000000017DC0: D1D30030 04C28F46
	v_max3_f32 v48, v72, v73, v48                              // 000000017DC8: D1D30030 04C29348
	v_max3_f32 v48, v74, v75, v48                              // 000000017DD0: D1D30030 04C2974A
	v_max3_f32 v48, v76, v77, v48                              // 000000017DD8: D1D30030 04C29B4C
	v_max3_f32 v48, v78, v79, v48                              // 000000017DE0: D1D30030 04C29F4E
	v_mov_b32_e32 v64, 0xff800000                              // 000000017DE8: 7E8002FF FF800000
	v_cmp_eq_u32_e64 s[40:41], v64, v13                        // 000000017DF0: D0CA0028 00021B40
	s_nop 1                                                    // 000000017DF8: BF800001
	v_max_f32_e32 v15, v48, v13                                // 000000017DFC: 161E1B30
	v_mul_f32_e32 v53, s64, v15                                // 000000017E00: 0A6A1E40
	v_fma_f32 v144, v144, s64, -v53                            // 000000017E04: D1CB0090 84D48190
	v_fma_f32 v145, v145, s64, -v53                            // 000000017E0C: D1CB0091 84D48191
	v_fma_f32 v146, v146, s64, -v53                            // 000000017E14: D1CB0092 84D48192
	v_fma_f32 v147, v147, s64, -v53                            // 000000017E1C: D1CB0093 84D48193
	v_fma_f32 v148, v148, s64, -v53                            // 000000017E24: D1CB0094 84D48194
	v_fma_f32 v149, v149, s64, -v53                            // 000000017E2C: D1CB0095 84D48195
	v_fma_f32 v150, v150, s64, -v53                            // 000000017E34: D1CB0096 84D48196
	v_fma_f32 v151, v151, s64, -v53                            // 000000017E3C: D1CB0097 84D48197
	v_fma_f32 v152, v152, s64, -v53                            // 000000017E44: D1CB0098 84D48198
	v_fma_f32 v153, v153, s64, -v53                            // 000000017E4C: D1CB0099 84D48199
	v_fma_f32 v154, v154, s64, -v53                            // 000000017E54: D1CB009A 84D4819A
	v_fma_f32 v155, v155, s64, -v53                            // 000000017E5C: D1CB009B 84D4819B
	v_fma_f32 v156, v156, s64, -v53                            // 000000017E64: D1CB009C 84D4819C
	v_fma_f32 v157, v157, s64, -v53                            // 000000017E6C: D1CB009D 84D4819D
	v_fma_f32 v158, v158, s64, -v53                            // 000000017E74: D1CB009E 84D4819E
	v_fma_f32 v159, v159, s64, -v53                            // 000000017E7C: D1CB009F 84D4819F
	v_exp_f32_e32 v144, v144                                   // 000000017E84: 7F204190
	v_exp_f32_e32 v145, v145                                   // 000000017E88: 7F224191
	v_exp_f32_e32 v146, v146                                   // 000000017E8C: 7F244192
	v_exp_f32_e32 v147, v147                                   // 000000017E90: 7F264193
	v_exp_f32_e32 v148, v148                                   // 000000017E94: 7F284194
	v_exp_f32_e32 v149, v149                                   // 000000017E98: 7F2A4195
	v_exp_f32_e32 v150, v150                                   // 000000017E9C: 7F2C4196
	v_exp_f32_e32 v151, v151                                   // 000000017EA0: 7F2E4197
	v_exp_f32_e32 v152, v152                                   // 000000017EA4: 7F304198
	v_exp_f32_e32 v153, v153                                   // 000000017EA8: 7F324199
	v_exp_f32_e32 v154, v154                                   // 000000017EAC: 7F34419A
	v_exp_f32_e32 v155, v155                                   // 000000017EB0: 7F36419B
	v_exp_f32_e32 v156, v156                                   // 000000017EB4: 7F38419C
	v_exp_f32_e32 v157, v157                                   // 000000017EB8: 7F3A419D
	v_exp_f32_e32 v158, v158                                   // 000000017EBC: 7F3C419E
	v_exp_f32_e32 v159, v159                                   // 000000017EC0: 7F3E419F
	v_mul_f32_dpp v240, v252, v144 quad_perm:[0,0,0,0] row_mask:0xf bank_mask:0xf// 000000017EC4: 0BE120FA FF0000FC
	v_mul_f32_dpp v241, v252, v145 quad_perm:[1,1,1,1] row_mask:0xf bank_mask:0xf// 000000017ECC: 0BE322FA FF0055FC
	v_mul_f32_dpp v242, v252, v146 quad_perm:[2,2,2,2] row_mask:0xf bank_mask:0xf// 000000017ED4: 0BE524FA FF00AAFC
	v_mul_f32_dpp v243, v252, v147 quad_perm:[3,3,3,3] row_mask:0xf bank_mask:0xf// 000000017EDC: 0BE726FA FF00FFFC
	v_mul_f32_dpp v244, v253, v148 quad_perm:[0,0,0,0] row_mask:0xf bank_mask:0xf// 000000017EE4: 0BE928FA FF0000FD
	v_mul_f32_dpp v245, v253, v149 quad_perm:[1,1,1,1] row_mask:0xf bank_mask:0xf// 000000017EEC: 0BEB2AFA FF0055FD
	v_mul_f32_dpp v246, v253, v150 quad_perm:[2,2,2,2] row_mask:0xf bank_mask:0xf// 000000017EF4: 0BED2CFA FF00AAFD
	v_mul_f32_dpp v247, v253, v151 quad_perm:[3,3,3,3] row_mask:0xf bank_mask:0xf// 000000017EFC: 0BEF2EFA FF00FFFD
	v_mul_f32_dpp v248, v254, v152 quad_perm:[0,0,0,0] row_mask:0xf bank_mask:0xf// 000000017F04: 0BF130FA FF0000FE
	v_mul_f32_dpp v249, v254, v153 quad_perm:[1,1,1,1] row_mask:0xf bank_mask:0xf// 000000017F0C: 0BF332FA FF0055FE
	v_mul_f32_dpp v250, v254, v154 quad_perm:[2,2,2,2] row_mask:0xf bank_mask:0xf// 000000017F14: 0BF534FA FF00AAFE
	v_mul_f32_dpp v251, v254, v155 quad_perm:[3,3,3,3] row_mask:0xf bank_mask:0xf// 000000017F1C: 0BF736FA FF00FFFE
	v_mul_f32_dpp v252, v255, v156 quad_perm:[0,0,0,0] row_mask:0xf bank_mask:0xf// 000000017F24: 0BF938FA FF0000FF
	v_mul_f32_dpp v253, v255, v157 quad_perm:[1,1,1,1] row_mask:0xf bank_mask:0xf// 000000017F2C: 0BFB3AFA FF0055FF
	v_mul_f32_dpp v254, v255, v158 quad_perm:[2,2,2,2] row_mask:0xf bank_mask:0xf// 000000017F34: 0BFD3CFA FF00AAFF
	v_mul_f32_dpp v255, v255, v159 quad_perm:[3,3,3,3] row_mask:0xf bank_mask:0xf// 000000017F3C: 0BFF3EFA FF00FFFF
	v_mov_b32_e32 v48, 0x358637bd                              // 000000017F44: 7E6002FF 358637BD
	v_max3_f32 v48, |v240|, |v241|, v48                        // 000000017F4C: D1D30330 04C3E3F0
	v_max3_f32 v48, |v242|, |v243|, v48                        // 000000017F54: D1D30330 04C3E7F2
	v_max3_f32 v48, |v244|, |v245|, v48                        // 000000017F5C: D1D30330 04C3EBF4
	v_max3_f32 v48, |v246|, |v247|, v48                        // 000000017F64: D1D30330 04C3EFF6
	v_max3_f32 v48, |v248|, |v249|, v48                        // 000000017F6C: D1D30330 04C3F3F8
	v_max3_f32 v48, |v250|, |v251|, v48                        // 000000017F74: D1D30330 04C3F7FA
	v_max3_f32 v48, |v252|, |v253|, v48                        // 000000017F7C: D1D30330 04C3FBFC
	v_max3_f32 v48, |v254|, |v255|, v48                        // 000000017F84: D1D30330 04C3FFFE
	ds_write_b32 v8, v48 offset:20992                          // 000000017F8C: D81A5200 00003008
	v_sub_f32_e32 v51, v13, v15                                // 000000017F94: 04661F0D
	v_cndmask_b32_e64 v51, v51, 0, s[40:41]                    // 000000017F98: D1000033 00A10133
	v_mov_b32_e32 v13, v15                                     // 000000017FA0: 7E1A030F
	v_mul_f32_e32 v51, s64, v51                                // 000000017FA4: 0A666640
	v_exp_f32_e32 v51, v51                                     // 000000017FA8: 7E664133
	s_waitcnt lgkmcnt(0)                                       // 000000017FAC: BF8CC07F
	s_barrier                                                  // 000000017FB0: BF8A0000
	ds_read_b32 v64, v7 offset:20992                           // 000000017FB4: D86C5200 40000007
	ds_read_b32 v65, v7 offset:21056                           // 000000017FBC: D86C5240 41000007
	ds_read_b32 v66, v7 offset:21120                           // 000000017FC4: D86C5280 42000007
	ds_read_b32 v67, v7 offset:21184                           // 000000017FCC: D86C52C0 43000007
	ds_read_b32 v68, v7 offset:21248                           // 000000017FD4: D86C5300 44000007
	ds_read_b32 v69, v7 offset:21312                           // 000000017FDC: D86C5340 45000007
	ds_read_b32 v70, v7 offset:21376                           // 000000017FE4: D86C5380 46000007
	ds_read_b32 v71, v7 offset:21440                           // 000000017FEC: D86C53C0 47000007
	ds_read_b32 v72, v7 offset:21504                           // 000000017FF4: D86C5400 48000007
	ds_read_b32 v73, v7 offset:21568                           // 000000017FFC: D86C5440 49000007
	ds_read_b32 v74, v7 offset:21632                           // 000000018004: D86C5480 4A000007
	ds_read_b32 v75, v7 offset:21696                           // 00000001800C: D86C54C0 4B000007
	ds_read_b32 v76, v7 offset:21760                           // 000000018014: D86C5500 4C000007
	ds_read_b32 v77, v7 offset:21824                           // 00000001801C: D86C5540 4D000007
	ds_read_b32 v78, v7 offset:21888                           // 000000018024: D86C5580 4E000007
	ds_read_b32 v79, v7 offset:21952                           // 00000001802C: D86C55C0 4F000007
	v_mul_f32_e32 v40, v51, v40                                // 000000018034: 0A505133
	v_mov_b32_e32 v15, v144                                    // 000000018038: 7E1E0390
	v_add_f32_e32 v15, v145, v15                               // 00000001803C: 021E1F91
	v_add_f32_e32 v15, v146, v15                               // 000000018040: 021E1F92
	v_add_f32_e32 v15, v147, v15                               // 000000018044: 021E1F93
	v_add_f32_e32 v15, v148, v15                               // 000000018048: 021E1F94
	v_add_f32_e32 v15, v149, v15                               // 00000001804C: 021E1F95
	v_add_f32_e32 v15, v150, v15                               // 000000018050: 021E1F96
	v_add_f32_e32 v15, v151, v15                               // 000000018054: 021E1F97
	v_add_f32_e32 v15, v152, v15                               // 000000018058: 021E1F98
	v_add_f32_e32 v15, v153, v15                               // 00000001805C: 021E1F99
	v_add_f32_e32 v15, v154, v15                               // 000000018060: 021E1F9A
	v_add_f32_e32 v15, v155, v15                               // 000000018064: 021E1F9B
	v_add_f32_e32 v15, v156, v15                               // 000000018068: 021E1F9C
	v_add_f32_e32 v15, v157, v15                               // 00000001806C: 021E1F9D
	v_add_f32_e32 v15, v158, v15                               // 000000018070: 021E1F9E
	v_add_f32_e32 v15, v159, v15                               // 000000018074: 021E1F9F
	v_add_f32_e32 v40, v15, v40                                // 000000018078: 0250510F
	s_waitcnt lgkmcnt(0)                                       // 00000001807C: BF8CC07F
	v_max3_f32 v48, |v64|, |v65|, v48                          // 000000018080: D1D30330 04C28340
	v_max3_f32 v48, |v66|, |v67|, v48                          // 000000018088: D1D30330 04C28742
	v_max3_f32 v48, |v68|, |v69|, v48                          // 000000018090: D1D30330 04C28B44
	v_max3_f32 v48, |v70|, |v71|, v48                          // 000000018098: D1D30330 04C28F46
	v_max3_f32 v48, |v72|, |v73|, v48                          // 0000000180A0: D1D30330 04C29348
	v_max3_f32 v48, |v74|, |v75|, v48                          // 0000000180A8: D1D30330 04C2974A
	v_max3_f32 v48, |v76|, |v77|, v48                          // 0000000180B0: D1D30330 04C29B4C
	v_max3_f32 v48, |v78|, |v79|, v48                          // 0000000180B8: D1D30330 04C29F4E
	s_nop 2                                                    // 0000000180C0: BF800002
	v_rcp_f32_e32 v48, v48                                     // 0000000180C4: 7E604530
	s_nop 1                                                    // 0000000180C8: BF800001
	v_mul_f32_e32 v48, 0x42fe0000, v48                         // 0000000180CC: 0A6060FF 42FE0000
	v_mul_f32_e32 v144, v48, v240                              // 0000000180D4: 0B21E130
	v_mul_f32_e32 v145, v48, v241                              // 0000000180D8: 0B23E330
	v_mul_f32_e32 v146, v48, v242                              // 0000000180DC: 0B25E530
	v_mul_f32_e32 v147, v48, v243                              // 0000000180E0: 0B27E730
	v_mul_f32_e32 v148, v48, v244                              // 0000000180E4: 0B29E930
	v_mul_f32_e32 v149, v48, v245                              // 0000000180E8: 0B2BEB30
	v_mul_f32_e32 v150, v48, v246                              // 0000000180EC: 0B2DED30
	v_mul_f32_e32 v151, v48, v247                              // 0000000180F0: 0B2FEF30
	v_mul_f32_e32 v152, v48, v248                              // 0000000180F4: 0B31F130
	v_mul_f32_e32 v153, v48, v249                              // 0000000180F8: 0B33F330
	v_mul_f32_e32 v154, v48, v250                              // 0000000180FC: 0B35F530
	v_mul_f32_e32 v155, v48, v251                              // 000000018100: 0B37F730
	v_mul_f32_e32 v156, v48, v252                              // 000000018104: 0B39F930
	v_mul_f32_e32 v157, v48, v253                              // 000000018108: 0B3BFB30
	v_mul_f32_e32 v158, v48, v254                              // 00000001810C: 0B3DFD30
	v_mul_f32_e32 v159, v48, v255                              // 000000018110: 0B3FFF30
	v_cvt_i32_f32_e32 v144, v144                               // 000000018114: 7F201190
	v_cvt_i32_f32_e32 v145, v145                               // 000000018118: 7F221191
	v_cvt_i32_f32_e32 v146, v146                               // 00000001811C: 7F241192
	v_cvt_i32_f32_e32 v147, v147                               // 000000018120: 7F261193
	v_cvt_i32_f32_e32 v148, v148                               // 000000018124: 7F281194
	v_cvt_i32_f32_e32 v149, v149                               // 000000018128: 7F2A1195
	v_cvt_i32_f32_e32 v150, v150                               // 00000001812C: 7F2C1196
	v_cvt_i32_f32_e32 v151, v151                               // 000000018130: 7F2E1197
	v_cvt_i32_f32_e32 v152, v152                               // 000000018134: 7F301198
	v_cvt_i32_f32_e32 v153, v153                               // 000000018138: 7F321199
	v_cvt_i32_f32_e32 v154, v154                               // 00000001813C: 7F34119A
	v_cvt_i32_f32_e32 v155, v155                               // 000000018140: 7F36119B
	v_cvt_i32_f32_e32 v156, v156                               // 000000018144: 7F38119C
	v_cvt_i32_f32_e32 v157, v157                               // 000000018148: 7F3A119D
	v_cvt_i32_f32_e32 v158, v158                               // 00000001814C: 7F3C119E
	v_cvt_i32_f32_e32 v159, v159                               // 000000018150: 7F3E119F
	v_perm_b32 v144, v145, v144, s53                           // 000000018154: D1ED0090 00D72191
	v_perm_b32 v144, v146, v144, s54                           // 00000001815C: D1ED0090 00DB2192
	v_perm_b32 v144, v147, v144, s55                           // 000000018164: D1ED0090 00DF2193
	v_perm_b32 v145, v149, v148, s53                           // 00000001816C: D1ED0091 00D72995
	v_perm_b32 v145, v150, v145, s54                           // 000000018174: D1ED0091 00DB2396
	v_perm_b32 v145, v151, v145, s55                           // 00000001817C: D1ED0091 00DF2397
	v_perm_b32 v146, v153, v152, s53                           // 000000018184: D1ED0092 00D73199
	v_perm_b32 v146, v154, v146, s54                           // 00000001818C: D1ED0092 00DB259A
	v_perm_b32 v146, v155, v146, s55                           // 000000018194: D1ED0092 00DF259B
	v_perm_b32 v147, v157, v156, s53                           // 00000001819C: D1ED0093 00D7399D
	v_perm_b32 v147, v158, v147, s54                           // 0000000181A4: D1ED0093 00DB279E
	v_perm_b32 v147, v159, v147, s55                           // 0000000181AC: D1ED0093 00DF279F
	ds_write_b32 v10, v144 offset:33280                        // 0000000181B4: D81A8200 0000900A
	ds_write_b32 v10, v145 offset:34304                        // 0000000181BC: D81A8600 0000910A
	ds_write_b32 v10, v146 offset:35328                        // 0000000181C4: D81A8A00 0000920A
	ds_write_b32 v10, v147 offset:36352                        // 0000000181CC: D81A8E00 0000930A
	v_add_f32_e32 v224, v224, v192                             // 0000000181D4: 03C181E0
	v_add_f32_e32 v225, v225, v193                             // 0000000181D8: 03C383E1
	v_add_f32_e32 v226, v226, v194                             // 0000000181DC: 03C585E2
	v_add_f32_e32 v227, v227, v195                             // 0000000181E0: 03C787E3
	v_add_f32_e32 v228, v228, v196                             // 0000000181E4: 03C989E4
	v_add_f32_e32 v229, v229, v197                             // 0000000181E8: 03CB8BE5
	v_add_f32_e32 v230, v230, v198                             // 0000000181EC: 03CD8DE6
	v_add_f32_e32 v231, v231, v199                             // 0000000181F0: 03CF8FE7
	v_rcp_f32_e32 v46, v48                                     // 0000000181F4: 7E5C4530
	s_waitcnt lgkmcnt(0)                                       // 0000000181F8: BF8CC07F
	s_barrier                                                  // 0000000181FC: BF8A0000
	ds_read_b64 v[144:145], v9 offset:33280                    // 000000018200: D8EC8200 90000009
	ds_read_b64 v[146:147], v9 offset:33408                    // 000000018208: D8EC8280 92000009
	ds_read_b64 v[148:149], v9 offset:34304                    // 000000018210: D8EC8600 94000009
	ds_read_b64 v[150:151], v9 offset:34432                    // 000000018218: D8EC8680 96000009
	ds_read_b64 v[152:153], v9 offset:35328                    // 000000018220: D8EC8A00 98000009
	ds_read_b64 v[154:155], v9 offset:35456                    // 000000018228: D8EC8A80 9A000009
	ds_read_b64 v[156:157], v9 offset:36352                    // 000000018230: D8EC8E00 9C000009
	ds_read_b64 v[158:159], v9 offset:36480                    // 000000018238: D8EC8E80 9E000009
	s_waitcnt vmcnt(0)                                         // 000000018240: BF8C0F70
	s_barrier                                                  // 000000018244: BF8A0000
	v_mfma_i32_16x16x32_i8 v[176:179], a[64:65], v[112:113], 0 // 000000018248: D3D700B0 0A02E140
	v_mfma_i32_16x16x32_i8 v[176:179], a[66:67], v[114:115], v[176:179]// 000000018250: D3D700B0 0EC2E542
	v_mfma_i32_16x16x32_i8 v[176:179], a[68:69], v[116:117], v[176:179]// 000000018258: D3D700B0 0EC2E944
	v_mfma_i32_16x16x32_i8 v[176:179], a[70:71], v[118:119], v[176:179]// 000000018260: D3D700B0 0EC2ED46
	v_mfma_i32_16x16x32_i8 v[176:179], a[72:73], v[120:121], v[176:179]// 000000018268: D3D700B0 0EC2F148
	v_mfma_i32_16x16x32_i8 v[176:179], a[74:75], v[122:123], v[176:179]// 000000018270: D3D700B0 0EC2F54A
	v_mfma_i32_16x16x32_i8 v[176:179], a[76:77], v[124:125], v[176:179]// 000000018278: D3D700B0 0EC2F94C
	v_mfma_i32_16x16x32_i8 v[176:179], a[78:79], v[126:127], v[176:179]// 000000018280: D3D700B0 0EC2FD4E
	v_mfma_i32_16x16x32_i8 v[180:183], a[80:81], v[112:113], 0 // 000000018288: D3D700B4 0A02E150
	v_mfma_i32_16x16x32_i8 v[180:183], a[82:83], v[114:115], v[180:183]// 000000018290: D3D700B4 0ED2E552
	v_mfma_i32_16x16x32_i8 v[180:183], a[84:85], v[116:117], v[180:183]// 000000018298: D3D700B4 0ED2E954
	v_mfma_i32_16x16x32_i8 v[180:183], a[86:87], v[118:119], v[180:183]// 0000000182A0: D3D700B4 0ED2ED56
	v_mfma_i32_16x16x32_i8 v[180:183], a[88:89], v[120:121], v[180:183]// 0000000182A8: D3D700B4 0ED2F158
	v_mfma_i32_16x16x32_i8 v[180:183], a[90:91], v[122:123], v[180:183]// 0000000182B0: D3D700B4 0ED2F55A
	v_mfma_i32_16x16x32_i8 v[180:183], a[92:93], v[124:125], v[180:183]// 0000000182B8: D3D700B4 0ED2F95C
	v_mfma_i32_16x16x32_i8 v[180:183], a[94:95], v[126:127], v[180:183]// 0000000182C0: D3D700B4 0ED2FD5E
	v_mfma_i32_16x16x32_i8 v[184:187], a[64:65], v[128:129], 0 // 0000000182C8: D3D700B8 0A030140
	v_mfma_i32_16x16x32_i8 v[184:187], a[66:67], v[130:131], v[184:187]// 0000000182D0: D3D700B8 0EE30542
	v_mfma_i32_16x16x32_i8 v[184:187], a[68:69], v[132:133], v[184:187]// 0000000182D8: D3D700B8 0EE30944
	v_mfma_i32_16x16x32_i8 v[184:187], a[70:71], v[134:135], v[184:187]// 0000000182E0: D3D700B8 0EE30D46
	v_mfma_i32_16x16x32_i8 v[184:187], a[72:73], v[136:137], v[184:187]// 0000000182E8: D3D700B8 0EE31148
	v_mfma_i32_16x16x32_i8 v[184:187], a[74:75], v[138:139], v[184:187]// 0000000182F0: D3D700B8 0EE3154A
	v_mfma_i32_16x16x32_i8 v[184:187], a[76:77], v[140:141], v[184:187]// 0000000182F8: D3D700B8 0EE3194C
	v_mfma_i32_16x16x32_i8 v[184:187], a[78:79], v[142:143], v[184:187]// 000000018300: D3D700B8 0EE31D4E
	v_mfma_i32_16x16x32_i8 v[188:191], a[80:81], v[128:129], 0 // 000000018308: D3D700BC 0A030150
	v_mfma_i32_16x16x32_i8 v[188:191], a[82:83], v[130:131], v[188:191]// 000000018310: D3D700BC 0EF30552
	v_mfma_i32_16x16x32_i8 v[188:191], a[84:85], v[132:133], v[188:191]// 000000018318: D3D700BC 0EF30954
	v_mfma_i32_16x16x32_i8 v[188:191], a[86:87], v[134:135], v[188:191]// 000000018320: D3D700BC 0EF30D56
	v_mfma_i32_16x16x32_i8 v[188:191], a[88:89], v[136:137], v[188:191]// 000000018328: D3D700BC 0EF31158
	v_mfma_i32_16x16x32_i8 v[188:191], a[90:91], v[138:139], v[188:191]// 000000018330: D3D700BC 0EF3155A
	v_mfma_i32_16x16x32_i8 v[188:191], a[92:93], v[140:141], v[188:191]// 000000018338: D3D700BC 0EF3195C
	v_mfma_i32_16x16x32_i8 v[188:191], a[94:95], v[142:143], v[188:191]// 000000018340: D3D700BC 0EF31D5E
	v_mfma_i32_16x16x32_i8 v[192:195], a[64:65], v[144:145], 0 // 000000018348: D3D700C0 0A032140
	v_mfma_i32_16x16x32_i8 v[192:195], a[66:67], v[146:147], v[192:195]// 000000018350: D3D700C0 0F032542
	v_mfma_i32_16x16x32_i8 v[192:195], a[68:69], v[148:149], v[192:195]// 000000018358: D3D700C0 0F032944
	v_mfma_i32_16x16x32_i8 v[192:195], a[70:71], v[150:151], v[192:195]// 000000018360: D3D700C0 0F032D46
	v_mfma_i32_16x16x32_i8 v[192:195], a[72:73], v[152:153], v[192:195]// 000000018368: D3D700C0 0F033148
	v_mfma_i32_16x16x32_i8 v[192:195], a[74:75], v[154:155], v[192:195]// 000000018370: D3D700C0 0F03354A
	v_mfma_i32_16x16x32_i8 v[192:195], a[76:77], v[156:157], v[192:195]// 000000018378: D3D700C0 0F03394C
	v_mfma_i32_16x16x32_i8 v[192:195], a[78:79], v[158:159], v[192:195]// 000000018380: D3D700C0 0F033D4E
	v_mfma_i32_16x16x32_i8 v[196:199], a[80:81], v[144:145], 0 // 000000018388: D3D700C4 0A032150
	v_mfma_i32_16x16x32_i8 v[196:199], a[82:83], v[146:147], v[196:199]// 000000018390: D3D700C4 0F132552
	v_mfma_i32_16x16x32_i8 v[196:199], a[84:85], v[148:149], v[196:199]// 000000018398: D3D700C4 0F132954
	v_mfma_i32_16x16x32_i8 v[196:199], a[86:87], v[150:151], v[196:199]// 0000000183A0: D3D700C4 0F132D56
	v_mfma_i32_16x16x32_i8 v[196:199], a[88:89], v[152:153], v[196:199]// 0000000183A8: D3D700C4 0F133158
	v_mfma_i32_16x16x32_i8 v[196:199], a[90:91], v[154:155], v[196:199]// 0000000183B0: D3D700C4 0F13355A
	v_mfma_i32_16x16x32_i8 v[196:199], a[92:93], v[156:157], v[196:199]// 0000000183B8: D3D700C4 0F13395C
	v_mfma_i32_16x16x32_i8 v[196:199], a[94:95], v[158:159], v[196:199]// 0000000183C0: D3D700C4 0F133D5E
	s_nop 4                                                    // 0000000183C8: BF800004
	s_branch label_6042                                        // 0000000183CC: BF8207CE

00000000000183d0 <label_5874>:
	s_waitcnt vmcnt(8) lgkmcnt(0)                              // 0000000183D0: BF8C0078
	s_barrier                                                  // 0000000183D4: BF8A0000
	v_mfma_i32_16x16x32_i8 v[112:115], a[32:33], v[80:81], 0   // 0000000183D8: D3D70070 0A02A120
	v_mfma_i32_16x16x32_i8 v[112:115], a[34:35], v[82:83], v[112:115]// 0000000183E0: D3D70070 0DC2A522
	v_mfma_i32_16x16x32_i8 v[112:115], a[36:37], v[84:85], v[112:115]// 0000000183E8: D3D70070 0DC2A924
	v_mfma_i32_16x16x32_i8 v[112:115], a[38:39], v[86:87], v[112:115]// 0000000183F0: D3D70070 0DC2AD26
	v_mfma_i32_16x16x32_i8 v[116:119], a[40:41], v[80:81], 0   // 0000000183F8: D3D70074 0A02A128
	v_mfma_i32_16x16x32_i8 v[116:119], a[42:43], v[82:83], v[116:119]// 000000018400: D3D70074 0DD2A52A
	v_mfma_i32_16x16x32_i8 v[116:119], a[44:45], v[84:85], v[116:119]// 000000018408: D3D70074 0DD2A92C
	v_mfma_i32_16x16x32_i8 v[116:119], a[46:47], v[86:87], v[116:119]// 000000018410: D3D70074 0DD2AD2E
	v_mfma_i32_16x16x32_i8 v[120:123], a[48:49], v[80:81], 0   // 000000018418: D3D70078 0A02A130
	v_mfma_i32_16x16x32_i8 v[120:123], a[50:51], v[82:83], v[120:123]// 000000018420: D3D70078 0DE2A532
	v_mfma_i32_16x16x32_i8 v[120:123], a[52:53], v[84:85], v[120:123]// 000000018428: D3D70078 0DE2A934
	v_mfma_i32_16x16x32_i8 v[120:123], a[54:55], v[86:87], v[120:123]// 000000018430: D3D70078 0DE2AD36
	v_mfma_i32_16x16x32_i8 v[124:127], a[56:57], v[80:81], 0   // 000000018438: D3D7007C 0A02A138
	v_mfma_i32_16x16x32_i8 v[124:127], a[58:59], v[82:83], v[124:127]// 000000018440: D3D7007C 0DF2A53A
	v_mfma_i32_16x16x32_i8 v[124:127], a[60:61], v[84:85], v[124:127]// 000000018448: D3D7007C 0DF2A93C
	v_mfma_i32_16x16x32_i8 v[124:127], a[62:63], v[86:87], v[124:127]// 000000018450: D3D7007C 0DF2AD3E
	v_mfma_i32_16x16x32_i8 v[128:131], a[32:33], v[88:89], 0   // 000000018458: D3D70080 0A02B120
	v_mfma_i32_16x16x32_i8 v[128:131], a[34:35], v[90:91], v[128:131]// 000000018460: D3D70080 0E02B522
	v_mfma_i32_16x16x32_i8 v[128:131], a[36:37], v[92:93], v[128:131]// 000000018468: D3D70080 0E02B924
	v_mfma_i32_16x16x32_i8 v[128:131], a[38:39], v[94:95], v[128:131]// 000000018470: D3D70080 0E02BD26
	v_mfma_i32_16x16x32_i8 v[132:135], a[40:41], v[88:89], 0   // 000000018478: D3D70084 0A02B128
	v_mfma_i32_16x16x32_i8 v[132:135], a[42:43], v[90:91], v[132:135]// 000000018480: D3D70084 0E12B52A
	v_mfma_i32_16x16x32_i8 v[132:135], a[44:45], v[92:93], v[132:135]// 000000018488: D3D70084 0E12B92C
	v_mfma_i32_16x16x32_i8 v[132:135], a[46:47], v[94:95], v[132:135]// 000000018490: D3D70084 0E12BD2E
	v_mfma_i32_16x16x32_i8 v[136:139], a[48:49], v[88:89], 0   // 000000018498: D3D70088 0A02B130
	v_mfma_i32_16x16x32_i8 v[136:139], a[50:51], v[90:91], v[136:139]// 0000000184A0: D3D70088 0E22B532
	v_mfma_i32_16x16x32_i8 v[136:139], a[52:53], v[92:93], v[136:139]// 0000000184A8: D3D70088 0E22B934
	v_mfma_i32_16x16x32_i8 v[136:139], a[54:55], v[94:95], v[136:139]// 0000000184B0: D3D70088 0E22BD36
	v_mfma_i32_16x16x32_i8 v[140:143], a[56:57], v[88:89], 0   // 0000000184B8: D3D7008C 0A02B138
	v_mfma_i32_16x16x32_i8 v[140:143], a[58:59], v[90:91], v[140:143]// 0000000184C0: D3D7008C 0E32B53A
	v_mfma_i32_16x16x32_i8 v[140:143], a[60:61], v[92:93], v[140:143]// 0000000184C8: D3D7008C 0E32B93C
	v_mfma_i32_16x16x32_i8 v[140:143], a[62:63], v[94:95], v[140:143]// 0000000184D0: D3D7008C 0E32BD3E
	v_mfma_i32_16x16x32_i8 v[144:147], a[32:33], v[96:97], 0   // 0000000184D8: D3D70090 0A02C120
	v_mfma_i32_16x16x32_i8 v[144:147], a[34:35], v[98:99], v[144:147]// 0000000184E0: D3D70090 0E42C522
	v_mfma_i32_16x16x32_i8 v[144:147], a[36:37], v[100:101], v[144:147]// 0000000184E8: D3D70090 0E42C924
	v_mfma_i32_16x16x32_i8 v[144:147], a[38:39], v[102:103], v[144:147]// 0000000184F0: D3D70090 0E42CD26
	v_mfma_i32_16x16x32_i8 v[148:151], a[40:41], v[96:97], 0   // 0000000184F8: D3D70094 0A02C128
	v_mfma_i32_16x16x32_i8 v[148:151], a[42:43], v[98:99], v[148:151]// 000000018500: D3D70094 0E52C52A
	v_mfma_i32_16x16x32_i8 v[148:151], a[44:45], v[100:101], v[148:151]// 000000018508: D3D70094 0E52C92C
	v_mfma_i32_16x16x32_i8 v[148:151], a[46:47], v[102:103], v[148:151]// 000000018510: D3D70094 0E52CD2E
	v_mfma_i32_16x16x32_i8 v[152:155], a[48:49], v[96:97], 0   // 000000018518: D3D70098 0A02C130
	v_mfma_i32_16x16x32_i8 v[152:155], a[50:51], v[98:99], v[152:155]// 000000018520: D3D70098 0E62C532
	v_mfma_i32_16x16x32_i8 v[152:155], a[52:53], v[100:101], v[152:155]// 000000018528: D3D70098 0E62C934
	v_mfma_i32_16x16x32_i8 v[152:155], a[54:55], v[102:103], v[152:155]// 000000018530: D3D70098 0E62CD36
	v_mfma_i32_16x16x32_i8 v[156:159], a[56:57], v[96:97], 0   // 000000018538: D3D7009C 0A02C138
	v_mfma_i32_16x16x32_i8 v[156:159], a[58:59], v[98:99], v[156:159]// 000000018540: D3D7009C 0E72C53A
	v_mfma_i32_16x16x32_i8 v[156:159], a[60:61], v[100:101], v[156:159]// 000000018548: D3D7009C 0E72C93C
	v_mfma_i32_16x16x32_i8 v[156:159], a[62:63], v[102:103], v[156:159]// 000000018550: D3D7009C 0E72CD3E
	v_mov_b32_dpp v64, v43 row_shr:4 row_mask:0xf bank_mask:0xf// 000000018558: 7E8002FA FF01142B
	v_mov_b32_dpp v65, v43 row_shl:4 row_mask:0xf bank_mask:0xf// 000000018560: 7E8202FA FF01042B
	v_cndmask_b32_e64 v248, v43, v64, s[44:45]                 // 000000018568: D10000F8 00B2812B
	v_cndmask_b32_e64 v249, v65, v43, s[44:45]                 // 000000018570: D10000F9 00B25741
	v_mov_b32_dpp v64, v248 row_shr:8 row_mask:0xf bank_mask:0xf// 000000018578: 7E8002FA FF0118F8
	v_mov_b32_dpp v65, v248 row_shl:8 row_mask:0xf bank_mask:0xf// 000000018580: 7E8202FA FF0108F8
	v_mov_b32_dpp v66, v249 row_shr:8 row_mask:0xf bank_mask:0xf// 000000018588: 7E8402FA FF0118F9
	v_mov_b32_dpp v67, v249 row_shl:8 row_mask:0xf bank_mask:0xf// 000000018590: 7E8602FA FF0108F9
	v_mov_b32_e32 v68, v248                                    // 000000018598: 7E8803F8
	v_mov_b32_e32 v69, v249                                    // 00000001859C: 7E8A03F9
	v_cndmask_b32_e64 v248, v68, v64, s[42:43]                 // 0000000185A0: D10000F8 00AA8144
	v_cndmask_b32_e64 v250, v68, v65, s[78:79]                 // 0000000185A8: D10000FA 013A8344
	v_cndmask_b32_e64 v249, v69, v66, s[42:43]                 // 0000000185B0: D10000F9 00AA8545
	v_cndmask_b32_e64 v251, v69, v67, s[78:79]                 // 0000000185B8: D10000FB 013A8745
	v_mov_b32_dpp v64, v58 row_shr:4 row_mask:0xf bank_mask:0xf// 0000000185C0: 7E8002FA FF01143A
	v_mov_b32_dpp v65, v58 row_shl:4 row_mask:0xf bank_mask:0xf// 0000000185C8: 7E8202FA FF01043A
	v_cndmask_b32_e64 v252, v58, v64, s[44:45]                 // 0000000185D0: D10000FC 00B2813A
	v_cndmask_b32_e64 v253, v65, v58, s[44:45]                 // 0000000185D8: D10000FD 00B27541
	v_mov_b32_dpp v64, v252 row_shr:8 row_mask:0xf bank_mask:0xf// 0000000185E0: 7E8002FA FF0118FC
	v_mov_b32_dpp v65, v252 row_shl:8 row_mask:0xf bank_mask:0xf// 0000000185E8: 7E8202FA FF0108FC
	v_mov_b32_dpp v66, v253 row_shr:8 row_mask:0xf bank_mask:0xf// 0000000185F0: 7E8402FA FF0118FD
	v_mov_b32_dpp v67, v253 row_shl:8 row_mask:0xf bank_mask:0xf// 0000000185F8: 7E8602FA FF0108FD
	v_mov_b32_e32 v68, v252                                    // 000000018600: 7E8803FC
	v_mov_b32_e32 v69, v253                                    // 000000018604: 7E8A03FD
	v_cndmask_b32_e64 v252, v68, v64, s[42:43]                 // 000000018608: D10000FC 00AA8144
	v_cndmask_b32_e64 v254, v68, v65, s[78:79]                 // 000000018610: D10000FE 013A8344
	v_cndmask_b32_e64 v253, v69, v66, s[42:43]                 // 000000018618: D10000FD 00AA8545
	v_cndmask_b32_e64 v255, v69, v67, s[78:79]                 // 000000018620: D10000FF 013A8745
	v_cvt_f32_i32_e32 v112, v112                               // 000000018628: 7EE00B70
	v_cvt_f32_i32_e32 v113, v113                               // 00000001862C: 7EE20B71
	v_cvt_f32_i32_e32 v114, v114                               // 000000018630: 7EE40B72
	v_cvt_f32_i32_e32 v115, v115                               // 000000018634: 7EE60B73
	v_cvt_f32_i32_e32 v116, v116                               // 000000018638: 7EE80B74
	v_cvt_f32_i32_e32 v117, v117                               // 00000001863C: 7EEA0B75
	v_cvt_f32_i32_e32 v118, v118                               // 000000018640: 7EEC0B76
	v_cvt_f32_i32_e32 v119, v119                               // 000000018644: 7EEE0B77
	v_cvt_f32_i32_e32 v120, v120                               // 000000018648: 7EF00B78
	v_cvt_f32_i32_e32 v121, v121                               // 00000001864C: 7EF20B79
	v_cvt_f32_i32_e32 v122, v122                               // 000000018650: 7EF40B7A
	v_cvt_f32_i32_e32 v123, v123                               // 000000018654: 7EF60B7B
	v_cvt_f32_i32_e32 v124, v124                               // 000000018658: 7EF80B7C
	v_cvt_f32_i32_e32 v125, v125                               // 00000001865C: 7EFA0B7D
	v_cvt_f32_i32_e32 v126, v126                               // 000000018660: 7EFC0B7E
	v_cvt_f32_i32_e32 v127, v127                               // 000000018664: 7EFE0B7F
	v_mul_f32_e32 v112, v18, v112                              // 000000018668: 0AE0E112
	v_mul_f32_e32 v113, v18, v113                              // 00000001866C: 0AE2E312
	v_mul_f32_e32 v114, v18, v114                              // 000000018670: 0AE4E512
	v_mul_f32_e32 v115, v18, v115                              // 000000018674: 0AE6E712
	v_mul_f32_e32 v116, v18, v116                              // 000000018678: 0AE8E912
	v_mul_f32_e32 v117, v18, v117                              // 00000001867C: 0AEAEB12
	v_mul_f32_e32 v118, v18, v118                              // 000000018680: 0AECED12
	v_mul_f32_e32 v119, v18, v119                              // 000000018684: 0AEEEF12
	v_mul_f32_e32 v120, v18, v120                              // 000000018688: 0AF0F112
	v_mul_f32_e32 v121, v18, v121                              // 00000001868C: 0AF2F312
	v_mul_f32_e32 v122, v18, v122                              // 000000018690: 0AF4F512
	v_mul_f32_e32 v123, v18, v123                              // 000000018694: 0AF6F712
	v_mul_f32_e32 v124, v18, v124                              // 000000018698: 0AF8F912
	v_mul_f32_e32 v125, v18, v125                              // 00000001869C: 0AFAFB12
	v_mul_f32_e32 v126, v18, v126                              // 0000000186A0: 0AFCFD12
	v_mul_f32_e32 v127, v18, v127                              // 0000000186A4: 0AFEFF12
	v_mul_f32_dpp v112, v248, v112 quad_perm:[0,0,0,0] row_mask:0xf bank_mask:0xf// 0000000186A8: 0AE0E0FA FF0000F8
	v_mul_f32_dpp v113, v248, v113 quad_perm:[1,1,1,1] row_mask:0xf bank_mask:0xf// 0000000186B0: 0AE2E2FA FF0055F8
	v_mul_f32_dpp v114, v248, v114 quad_perm:[2,2,2,2] row_mask:0xf bank_mask:0xf// 0000000186B8: 0AE4E4FA FF00AAF8
	v_mul_f32_dpp v115, v248, v115 quad_perm:[3,3,3,3] row_mask:0xf bank_mask:0xf// 0000000186C0: 0AE6E6FA FF00FFF8
	v_mul_f32_dpp v116, v249, v116 quad_perm:[0,0,0,0] row_mask:0xf bank_mask:0xf// 0000000186C8: 0AE8E8FA FF0000F9
	v_mul_f32_dpp v117, v249, v117 quad_perm:[1,1,1,1] row_mask:0xf bank_mask:0xf// 0000000186D0: 0AEAEAFA FF0055F9
	v_mul_f32_dpp v118, v249, v118 quad_perm:[2,2,2,2] row_mask:0xf bank_mask:0xf// 0000000186D8: 0AECECFA FF00AAF9
	v_mul_f32_dpp v119, v249, v119 quad_perm:[3,3,3,3] row_mask:0xf bank_mask:0xf// 0000000186E0: 0AEEEEFA FF00FFF9
	v_mul_f32_dpp v120, v250, v120 quad_perm:[0,0,0,0] row_mask:0xf bank_mask:0xf// 0000000186E8: 0AF0F0FA FF0000FA
	v_mul_f32_dpp v121, v250, v121 quad_perm:[1,1,1,1] row_mask:0xf bank_mask:0xf// 0000000186F0: 0AF2F2FA FF0055FA
	v_mul_f32_dpp v122, v250, v122 quad_perm:[2,2,2,2] row_mask:0xf bank_mask:0xf// 0000000186F8: 0AF4F4FA FF00AAFA
	v_mul_f32_dpp v123, v250, v123 quad_perm:[3,3,3,3] row_mask:0xf bank_mask:0xf// 000000018700: 0AF6F6FA FF00FFFA
	v_mul_f32_dpp v124, v251, v124 quad_perm:[0,0,0,0] row_mask:0xf bank_mask:0xf// 000000018708: 0AF8F8FA FF0000FB
	v_mul_f32_dpp v125, v251, v125 quad_perm:[1,1,1,1] row_mask:0xf bank_mask:0xf// 000000018710: 0AFAFAFA FF0055FB
	v_mul_f32_dpp v126, v251, v126 quad_perm:[2,2,2,2] row_mask:0xf bank_mask:0xf// 000000018718: 0AFCFCFA FF00AAFB
	v_mul_f32_dpp v127, v251, v127 quad_perm:[3,3,3,3] row_mask:0xf bank_mask:0xf// 000000018720: 0AFEFEFA FF00FFFB
	s_and_b32 s60, s72, 0xff                                   // 000000018728: 863CFF48 000000FF
	v_mov_b32_e32 v65, s60                                     // 000000018730: 7E82023C
	v_lshrrev_b32_e32 v240, 4, v0                              // 000000018734: 21E00084
	v_mul_i32_i24_e32 v240, 4, v240                            // 000000018738: 0DE1E084
	s_mul_i32 s60, s7, 16                                      // 00000001873C: 923C9007
	v_add_u32_e32 v240, s60, v240                              // 000000018740: 69E1E03C
	v_add_u32_e32 v241, 1, v240                                // 000000018744: 69E3E081
	v_add_u32_e32 v242, 2, v240                                // 000000018748: 69E5E082
	v_add_u32_e32 v243, 3, v240                                // 00000001874C: 69E7E083
	v_mov_b32_e32 v64, 0xff800000                              // 000000018750: 7E8002FF FF800000
	v_cmp_lt_u32_e64 s[40:41], v240, v65                       // 000000018758: D0C90028 000283F0
	v_add_u32_e32 v240, 64, v240                               // 000000018760: 69E1E0C0
	s_nop 0                                                    // 000000018764: BF800000
	v_cndmask_b32_e64 v112, v64, v112, s[40:41]                // 000000018768: D1000070 00A2E140
	v_cmp_lt_u32_e64 s[40:41], v241, v65                       // 000000018770: D0C90028 000283F1
	v_add_u32_e32 v241, 64, v241                               // 000000018778: 69E3E2C0
	s_nop 0                                                    // 00000001877C: BF800000
	v_cndmask_b32_e64 v113, v64, v113, s[40:41]                // 000000018780: D1000071 00A2E340
	v_cmp_lt_u32_e64 s[40:41], v242, v65                       // 000000018788: D0C90028 000283F2
	v_add_u32_e32 v242, 64, v242                               // 000000018790: 69E5E4C0
	s_nop 0                                                    // 000000018794: BF800000
	v_cndmask_b32_e64 v114, v64, v114, s[40:41]                // 000000018798: D1000072 00A2E540
	v_cmp_lt_u32_e64 s[40:41], v243, v65                       // 0000000187A0: D0C90028 000283F3
	v_add_u32_e32 v243, 64, v243                               // 0000000187A8: 69E7E6C0
	s_nop 0                                                    // 0000000187AC: BF800000
	v_cndmask_b32_e64 v115, v64, v115, s[40:41]                // 0000000187B0: D1000073 00A2E740
	v_cmp_lt_u32_e64 s[40:41], v240, v65                       // 0000000187B8: D0C90028 000283F0
	v_add_u32_e32 v240, 64, v240                               // 0000000187C0: 69E1E0C0
	s_nop 0                                                    // 0000000187C4: BF800000
	v_cndmask_b32_e64 v116, v64, v116, s[40:41]                // 0000000187C8: D1000074 00A2E940
	v_cmp_lt_u32_e64 s[40:41], v241, v65                       // 0000000187D0: D0C90028 000283F1
	v_add_u32_e32 v241, 64, v241                               // 0000000187D8: 69E3E2C0
	s_nop 0                                                    // 0000000187DC: BF800000
	v_cndmask_b32_e64 v117, v64, v117, s[40:41]                // 0000000187E0: D1000075 00A2EB40
	v_cmp_lt_u32_e64 s[40:41], v242, v65                       // 0000000187E8: D0C90028 000283F2
	v_add_u32_e32 v242, 64, v242                               // 0000000187F0: 69E5E4C0
	s_nop 0                                                    // 0000000187F4: BF800000
	v_cndmask_b32_e64 v118, v64, v118, s[40:41]                // 0000000187F8: D1000076 00A2ED40
	v_cmp_lt_u32_e64 s[40:41], v243, v65                       // 000000018800: D0C90028 000283F3
	v_add_u32_e32 v243, 64, v243                               // 000000018808: 69E7E6C0
	s_nop 0                                                    // 00000001880C: BF800000
	v_cndmask_b32_e64 v119, v64, v119, s[40:41]                // 000000018810: D1000077 00A2EF40
	v_cmp_lt_u32_e64 s[40:41], v240, v65                       // 000000018818: D0C90028 000283F0
	v_add_u32_e32 v240, 64, v240                               // 000000018820: 69E1E0C0
	s_nop 0                                                    // 000000018824: BF800000
	v_cndmask_b32_e64 v120, v64, v120, s[40:41]                // 000000018828: D1000078 00A2F140
	v_cmp_lt_u32_e64 s[40:41], v241, v65                       // 000000018830: D0C90028 000283F1
	v_add_u32_e32 v241, 64, v241                               // 000000018838: 69E3E2C0
	s_nop 0                                                    // 00000001883C: BF800000
	v_cndmask_b32_e64 v121, v64, v121, s[40:41]                // 000000018840: D1000079 00A2F340
	v_cmp_lt_u32_e64 s[40:41], v242, v65                       // 000000018848: D0C90028 000283F2
	v_add_u32_e32 v242, 64, v242                               // 000000018850: 69E5E4C0
	s_nop 0                                                    // 000000018854: BF800000
	v_cndmask_b32_e64 v122, v64, v122, s[40:41]                // 000000018858: D100007A 00A2F540
	v_cmp_lt_u32_e64 s[40:41], v243, v65                       // 000000018860: D0C90028 000283F3
	v_add_u32_e32 v243, 64, v243                               // 000000018868: 69E7E6C0
	s_nop 0                                                    // 00000001886C: BF800000
	v_cndmask_b32_e64 v123, v64, v123, s[40:41]                // 000000018870: D100007B 00A2F740
	v_cmp_lt_u32_e64 s[40:41], v240, v65                       // 000000018878: D0C90028 000283F0
	v_add_u32_e32 v240, 64, v240                               // 000000018880: 69E1E0C0
	s_nop 0                                                    // 000000018884: BF800000
	v_cndmask_b32_e64 v124, v64, v124, s[40:41]                // 000000018888: D100007C 00A2F940
	v_cmp_lt_u32_e64 s[40:41], v241, v65                       // 000000018890: D0C90028 000283F1
	v_add_u32_e32 v241, 64, v241                               // 000000018898: 69E3E2C0
	s_nop 0                                                    // 00000001889C: BF800000
	v_cndmask_b32_e64 v125, v64, v125, s[40:41]                // 0000000188A0: D100007D 00A2FB40
	v_cmp_lt_u32_e64 s[40:41], v242, v65                       // 0000000188A8: D0C90028 000283F2
	v_add_u32_e32 v242, 64, v242                               // 0000000188B0: 69E5E4C0
	s_nop 0                                                    // 0000000188B4: BF800000
	v_cndmask_b32_e64 v126, v64, v126, s[40:41]                // 0000000188B8: D100007E 00A2FD40
	v_cmp_lt_u32_e64 s[40:41], v243, v65                       // 0000000188C0: D0C90028 000283F3
	v_add_u32_e32 v243, 64, v243                               // 0000000188C8: 69E7E6C0
	s_nop 0                                                    // 0000000188CC: BF800000
	v_cndmask_b32_e64 v127, v64, v127, s[40:41]                // 0000000188D0: D100007F 00A2FF40
	v_mov_b32_e32 v48, v112                                    // 0000000188D8: 7E600370
	v_max3_f32 v48, v112, v113, v48                            // 0000000188DC: D1D30030 04C2E370
	v_max3_f32 v48, v114, v115, v48                            // 0000000188E4: D1D30030 04C2E772
	v_max3_f32 v48, v116, v117, v48                            // 0000000188EC: D1D30030 04C2EB74
	v_max3_f32 v48, v118, v119, v48                            // 0000000188F4: D1D30030 04C2EF76
	v_max3_f32 v48, v120, v121, v48                            // 0000000188FC: D1D30030 04C2F378
	v_max3_f32 v48, v122, v123, v48                            // 000000018904: D1D30030 04C2F77A
	v_max3_f32 v48, v124, v125, v48                            // 00000001890C: D1D30030 04C2FB7C
	v_max3_f32 v48, v126, v127, v48                            // 000000018914: D1D30030 04C2FF7E
	ds_write_b32 v8, v48 offset:16896                          // 00000001891C: D81A4200 00003008
	v_mul_u32_u24_dpp v64, v16, v54 row_newbcast:1 row_mask:0xf bank_mask:0xf// 000000018924: 10806CFA FF015110
	v_mul_u32_u24_dpp v65, v16, v54 row_newbcast:5 row_mask:0xf bank_mask:0xf// 00000001892C: 10826CFA FF015510
	v_mul_u32_u24_dpp v66, v16, v54 row_newbcast:9 row_mask:0xf bank_mask:0xf// 000000018934: 10846CFA FF015910
	v_mul_u32_u24_dpp v67, v16, v54 row_newbcast:13 row_mask:0xf bank_mask:0xf// 00000001893C: 10866CFA FF015D10
	v_add_u32_e32 v30, v64, v6                                 // 000000018944: 683C0D40
	v_add_u32_e32 v31, v65, v6                                 // 000000018948: 683E0D41
	v_add_u32_e32 v32, v66, v6                                 // 00000001894C: 68400D42
	v_add_u32_e32 v33, v67, v6                                 // 000000018950: 68420D43
	v_mul_f32_e32 v208, v49, v208                              // 000000018954: 0BA1A131
	v_mul_f32_e32 v209, v49, v209                              // 000000018958: 0BA3A331
	v_mul_f32_e32 v210, v49, v210                              // 00000001895C: 0BA5A531
	v_mul_f32_e32 v211, v49, v211                              // 000000018960: 0BA7A731
	v_mul_f32_e32 v212, v49, v212                              // 000000018964: 0BA9A931
	v_mul_f32_e32 v213, v49, v213                              // 000000018968: 0BABAB31
	v_mul_f32_e32 v214, v49, v214                              // 00000001896C: 0BADAD31
	v_mul_f32_e32 v215, v49, v215                              // 000000018970: 0BAFAF31
	s_waitcnt lgkmcnt(0)                                       // 000000018974: BF8CC07F
	s_barrier                                                  // 000000018978: BF8A0000
	ds_read_b32 v64, v7 offset:16896                           // 00000001897C: D86C4200 40000007
	ds_read_b32 v65, v7 offset:16960                           // 000000018984: D86C4240 41000007
	ds_read_b32 v66, v7 offset:17024                           // 00000001898C: D86C4280 42000007
	ds_read_b32 v67, v7 offset:17088                           // 000000018994: D86C42C0 43000007
	ds_read_b32 v68, v7 offset:17152                           // 00000001899C: D86C4300 44000007
	ds_read_b32 v69, v7 offset:17216                           // 0000000189A4: D86C4340 45000007
	ds_read_b32 v70, v7 offset:17280                           // 0000000189AC: D86C4380 46000007
	ds_read_b32 v71, v7 offset:17344                           // 0000000189B4: D86C43C0 47000007
	ds_read_b32 v72, v7 offset:17408                           // 0000000189BC: D86C4400 48000007
	ds_read_b32 v73, v7 offset:17472                           // 0000000189C4: D86C4440 49000007
	ds_read_b32 v74, v7 offset:17536                           // 0000000189CC: D86C4480 4A000007
	ds_read_b32 v75, v7 offset:17600                           // 0000000189D4: D86C44C0 4B000007
	ds_read_b32 v76, v7 offset:17664                           // 0000000189DC: D86C4500 4C000007
	ds_read_b32 v77, v7 offset:17728                           // 0000000189E4: D86C4540 4D000007
	ds_read_b32 v78, v7 offset:17792                           // 0000000189EC: D86C4580 4E000007
	ds_read_b32 v79, v7 offset:17856                           // 0000000189F4: D86C45C0 4F000007
	v_cvt_f32_i32_e32 v176, v176                               // 0000000189FC: 7F600BB0
	v_cvt_f32_i32_e32 v177, v177                               // 000000018A00: 7F620BB1
	v_cvt_f32_i32_e32 v178, v178                               // 000000018A04: 7F640BB2
	v_cvt_f32_i32_e32 v179, v179                               // 000000018A08: 7F660BB3
	v_cvt_f32_i32_e32 v180, v180                               // 000000018A0C: 7F680BB4
	v_cvt_f32_i32_e32 v181, v181                               // 000000018A10: 7F6A0BB5
	v_cvt_f32_i32_e32 v182, v182                               // 000000018A14: 7F6C0BB6
	v_cvt_f32_i32_e32 v183, v183                               // 000000018A18: 7F6E0BB7
	v_mul_f32_e32 v176, v44, v176                              // 000000018A1C: 0B61612C
	v_mul_f32_e32 v177, v44, v177                              // 000000018A20: 0B63632C
	v_mul_f32_e32 v178, v44, v178                              // 000000018A24: 0B65652C
	v_mul_f32_e32 v179, v44, v179                              // 000000018A28: 0B67672C
	v_mul_f32_e32 v180, v44, v180                              // 000000018A2C: 0B69692C
	v_mul_f32_e32 v181, v44, v181                              // 000000018A30: 0B6B6B2C
	v_mul_f32_e32 v182, v44, v182                              // 000000018A34: 0B6D6D2C
	v_mul_f32_e32 v183, v44, v183                              // 000000018A38: 0B6F6F2C
	s_waitcnt lgkmcnt(0)                                       // 000000018A3C: BF8CC07F
	v_max3_f32 v48, v64, v65, v48                              // 000000018A40: D1D30030 04C28340
	v_max3_f32 v48, v66, v67, v48                              // 000000018A48: D1D30030 04C28742
	v_max3_f32 v48, v68, v69, v48                              // 000000018A50: D1D30030 04C28B44
	v_max3_f32 v48, v70, v71, v48                              // 000000018A58: D1D30030 04C28F46
	v_max3_f32 v48, v72, v73, v48                              // 000000018A60: D1D30030 04C29348
	v_max3_f32 v48, v74, v75, v48                              // 000000018A68: D1D30030 04C2974A
	v_max3_f32 v48, v76, v77, v48                              // 000000018A70: D1D30030 04C29B4C
	v_max3_f32 v48, v78, v79, v48                              // 000000018A78: D1D30030 04C29F4E
	v_mov_b32_e32 v64, 0xff800000                              // 000000018A80: 7E8002FF FF800000
	v_cmp_eq_u32_e64 s[40:41], v64, v11                        // 000000018A88: D0CA0028 00021740
	s_nop 1                                                    // 000000018A90: BF800001
	v_max_f32_e32 v15, v48, v11                                // 000000018A94: 161E1730
	v_mul_f32_e32 v53, s64, v15                                // 000000018A98: 0A6A1E40
	v_fma_f32 v112, v112, s64, -v53                            // 000000018A9C: D1CB0070 84D48170
	v_fma_f32 v113, v113, s64, -v53                            // 000000018AA4: D1CB0071 84D48171
	v_fma_f32 v114, v114, s64, -v53                            // 000000018AAC: D1CB0072 84D48172
	v_fma_f32 v115, v115, s64, -v53                            // 000000018AB4: D1CB0073 84D48173
	v_fma_f32 v116, v116, s64, -v53                            // 000000018ABC: D1CB0074 84D48174
	v_fma_f32 v117, v117, s64, -v53                            // 000000018AC4: D1CB0075 84D48175
	v_fma_f32 v118, v118, s64, -v53                            // 000000018ACC: D1CB0076 84D48176
	v_fma_f32 v119, v119, s64, -v53                            // 000000018AD4: D1CB0077 84D48177
	v_fma_f32 v120, v120, s64, -v53                            // 000000018ADC: D1CB0078 84D48178
	v_fma_f32 v121, v121, s64, -v53                            // 000000018AE4: D1CB0079 84D48179
	v_fma_f32 v122, v122, s64, -v53                            // 000000018AEC: D1CB007A 84D4817A
	v_fma_f32 v123, v123, s64, -v53                            // 000000018AF4: D1CB007B 84D4817B
	v_fma_f32 v124, v124, s64, -v53                            // 000000018AFC: D1CB007C 84D4817C
	v_fma_f32 v125, v125, s64, -v53                            // 000000018B04: D1CB007D 84D4817D
	v_fma_f32 v126, v126, s64, -v53                            // 000000018B0C: D1CB007E 84D4817E
	v_fma_f32 v127, v127, s64, -v53                            // 000000018B14: D1CB007F 84D4817F
	v_exp_f32_e32 v112, v112                                   // 000000018B1C: 7EE04170
	v_exp_f32_e32 v113, v113                                   // 000000018B20: 7EE24171
	v_exp_f32_e32 v114, v114                                   // 000000018B24: 7EE44172
	v_exp_f32_e32 v115, v115                                   // 000000018B28: 7EE64173
	v_exp_f32_e32 v116, v116                                   // 000000018B2C: 7EE84174
	v_exp_f32_e32 v117, v117                                   // 000000018B30: 7EEA4175
	v_exp_f32_e32 v118, v118                                   // 000000018B34: 7EEC4176
	v_exp_f32_e32 v119, v119                                   // 000000018B38: 7EEE4177
	v_exp_f32_e32 v120, v120                                   // 000000018B3C: 7EF04178
	v_exp_f32_e32 v121, v121                                   // 000000018B40: 7EF24179
	v_exp_f32_e32 v122, v122                                   // 000000018B44: 7EF4417A
	v_exp_f32_e32 v123, v123                                   // 000000018B48: 7EF6417B
	v_exp_f32_e32 v124, v124                                   // 000000018B4C: 7EF8417C
	v_exp_f32_e32 v125, v125                                   // 000000018B50: 7EFA417D
	v_exp_f32_e32 v126, v126                                   // 000000018B54: 7EFC417E
	v_exp_f32_e32 v127, v127                                   // 000000018B58: 7EFE417F
	v_mul_f32_dpp v240, v252, v112 quad_perm:[0,0,0,0] row_mask:0xf bank_mask:0xf// 000000018B5C: 0BE0E0FA FF0000FC
	v_mul_f32_dpp v241, v252, v113 quad_perm:[1,1,1,1] row_mask:0xf bank_mask:0xf// 000000018B64: 0BE2E2FA FF0055FC
	v_mul_f32_dpp v242, v252, v114 quad_perm:[2,2,2,2] row_mask:0xf bank_mask:0xf// 000000018B6C: 0BE4E4FA FF00AAFC
	v_mul_f32_dpp v243, v252, v115 quad_perm:[3,3,3,3] row_mask:0xf bank_mask:0xf// 000000018B74: 0BE6E6FA FF00FFFC
	v_mul_f32_dpp v244, v253, v116 quad_perm:[0,0,0,0] row_mask:0xf bank_mask:0xf// 000000018B7C: 0BE8E8FA FF0000FD
	v_mul_f32_dpp v245, v253, v117 quad_perm:[1,1,1,1] row_mask:0xf bank_mask:0xf// 000000018B84: 0BEAEAFA FF0055FD
	v_mul_f32_dpp v246, v253, v118 quad_perm:[2,2,2,2] row_mask:0xf bank_mask:0xf// 000000018B8C: 0BECECFA FF00AAFD
	v_mul_f32_dpp v247, v253, v119 quad_perm:[3,3,3,3] row_mask:0xf bank_mask:0xf// 000000018B94: 0BEEEEFA FF00FFFD
	v_mul_f32_dpp v248, v254, v120 quad_perm:[0,0,0,0] row_mask:0xf bank_mask:0xf// 000000018B9C: 0BF0F0FA FF0000FE
	v_mul_f32_dpp v249, v254, v121 quad_perm:[1,1,1,1] row_mask:0xf bank_mask:0xf// 000000018BA4: 0BF2F2FA FF0055FE
	v_mul_f32_dpp v250, v254, v122 quad_perm:[2,2,2,2] row_mask:0xf bank_mask:0xf// 000000018BAC: 0BF4F4FA FF00AAFE
	v_mul_f32_dpp v251, v254, v123 quad_perm:[3,3,3,3] row_mask:0xf bank_mask:0xf// 000000018BB4: 0BF6F6FA FF00FFFE
	v_mul_f32_dpp v252, v255, v124 quad_perm:[0,0,0,0] row_mask:0xf bank_mask:0xf// 000000018BBC: 0BF8F8FA FF0000FF
	v_mul_f32_dpp v253, v255, v125 quad_perm:[1,1,1,1] row_mask:0xf bank_mask:0xf// 000000018BC4: 0BFAFAFA FF0055FF
	v_mul_f32_dpp v254, v255, v126 quad_perm:[2,2,2,2] row_mask:0xf bank_mask:0xf// 000000018BCC: 0BFCFCFA FF00AAFF
	v_mul_f32_dpp v255, v255, v127 quad_perm:[3,3,3,3] row_mask:0xf bank_mask:0xf// 000000018BD4: 0BFEFEFA FF00FFFF
	v_mov_b32_e32 v48, 0x358637bd                              // 000000018BDC: 7E6002FF 358637BD
	v_max3_f32 v48, |v240|, |v241|, v48                        // 000000018BE4: D1D30330 04C3E3F0
	v_max3_f32 v48, |v242|, |v243|, v48                        // 000000018BEC: D1D30330 04C3E7F2
	v_max3_f32 v48, |v244|, |v245|, v48                        // 000000018BF4: D1D30330 04C3EBF4
	v_max3_f32 v48, |v246|, |v247|, v48                        // 000000018BFC: D1D30330 04C3EFF6
	v_max3_f32 v48, |v248|, |v249|, v48                        // 000000018C04: D1D30330 04C3F3F8
	v_max3_f32 v48, |v250|, |v251|, v48                        // 000000018C0C: D1D30330 04C3F7FA
	v_max3_f32 v48, |v252|, |v253|, v48                        // 000000018C14: D1D30330 04C3FBFC
	v_max3_f32 v48, |v254|, |v255|, v48                        // 000000018C1C: D1D30330 04C3FFFE
	ds_write_b32 v8, v48 offset:20992                          // 000000018C24: D81A5200 00003008
	v_sub_f32_e32 v49, v11, v15                                // 000000018C2C: 04621F0B
	v_cndmask_b32_e64 v49, v49, 0, s[40:41]                    // 000000018C30: D1000031 00A10131
	v_mov_b32_e32 v11, v15                                     // 000000018C38: 7E16030F
	v_mul_f32_e32 v49, s64, v49                                // 000000018C3C: 0A626240
	v_exp_f32_e32 v49, v49                                     // 000000018C40: 7E624131
	s_waitcnt lgkmcnt(0)                                       // 000000018C44: BF8CC07F
	s_barrier                                                  // 000000018C48: BF8A0000
	ds_read_b32 v64, v7 offset:20992                           // 000000018C4C: D86C5200 40000007
	ds_read_b32 v65, v7 offset:21056                           // 000000018C54: D86C5240 41000007
	ds_read_b32 v66, v7 offset:21120                           // 000000018C5C: D86C5280 42000007
	ds_read_b32 v67, v7 offset:21184                           // 000000018C64: D86C52C0 43000007
	ds_read_b32 v68, v7 offset:21248                           // 000000018C6C: D86C5300 44000007
	ds_read_b32 v69, v7 offset:21312                           // 000000018C74: D86C5340 45000007
	ds_read_b32 v70, v7 offset:21376                           // 000000018C7C: D86C5380 46000007
	ds_read_b32 v71, v7 offset:21440                           // 000000018C84: D86C53C0 47000007
	ds_read_b32 v72, v7 offset:21504                           // 000000018C8C: D86C5400 48000007
	ds_read_b32 v73, v7 offset:21568                           // 000000018C94: D86C5440 49000007
	ds_read_b32 v74, v7 offset:21632                           // 000000018C9C: D86C5480 4A000007
	ds_read_b32 v75, v7 offset:21696                           // 000000018CA4: D86C54C0 4B000007
	ds_read_b32 v76, v7 offset:21760                           // 000000018CAC: D86C5500 4C000007
	ds_read_b32 v77, v7 offset:21824                           // 000000018CB4: D86C5540 4D000007
	ds_read_b32 v78, v7 offset:21888                           // 000000018CBC: D86C5580 4E000007
	ds_read_b32 v79, v7 offset:21952                           // 000000018CC4: D86C55C0 4F000007
	v_mul_f32_e32 v38, v49, v38                                // 000000018CCC: 0A4C4D31
	v_mov_b32_e32 v15, v112                                    // 000000018CD0: 7E1E0370
	v_add_f32_e32 v15, v113, v15                               // 000000018CD4: 021E1F71
	v_add_f32_e32 v15, v114, v15                               // 000000018CD8: 021E1F72
	v_add_f32_e32 v15, v115, v15                               // 000000018CDC: 021E1F73
	v_add_f32_e32 v15, v116, v15                               // 000000018CE0: 021E1F74
	v_add_f32_e32 v15, v117, v15                               // 000000018CE4: 021E1F75
	v_add_f32_e32 v15, v118, v15                               // 000000018CE8: 021E1F76
	v_add_f32_e32 v15, v119, v15                               // 000000018CEC: 021E1F77
	v_add_f32_e32 v15, v120, v15                               // 000000018CF0: 021E1F78
	v_add_f32_e32 v15, v121, v15                               // 000000018CF4: 021E1F79
	v_add_f32_e32 v15, v122, v15                               // 000000018CF8: 021E1F7A
	v_add_f32_e32 v15, v123, v15                               // 000000018CFC: 021E1F7B
	v_add_f32_e32 v15, v124, v15                               // 000000018D00: 021E1F7C
	v_add_f32_e32 v15, v125, v15                               // 000000018D04: 021E1F7D
	v_add_f32_e32 v15, v126, v15                               // 000000018D08: 021E1F7E
	v_add_f32_e32 v15, v127, v15                               // 000000018D0C: 021E1F7F
	v_add_f32_e32 v38, v15, v38                                // 000000018D10: 024C4D0F
	s_waitcnt lgkmcnt(0)                                       // 000000018D14: BF8CC07F
	v_max3_f32 v48, |v64|, |v65|, v48                          // 000000018D18: D1D30330 04C28340
	v_max3_f32 v48, |v66|, |v67|, v48                          // 000000018D20: D1D30330 04C28742
	v_max3_f32 v48, |v68|, |v69|, v48                          // 000000018D28: D1D30330 04C28B44
	v_max3_f32 v48, |v70|, |v71|, v48                          // 000000018D30: D1D30330 04C28F46
	v_max3_f32 v48, |v72|, |v73|, v48                          // 000000018D38: D1D30330 04C29348
	v_max3_f32 v48, |v74|, |v75|, v48                          // 000000018D40: D1D30330 04C2974A
	v_max3_f32 v48, |v76|, |v77|, v48                          // 000000018D48: D1D30330 04C29B4C
	v_max3_f32 v48, |v78|, |v79|, v48                          // 000000018D50: D1D30330 04C29F4E
	s_nop 2                                                    // 000000018D58: BF800002
	v_rcp_f32_e32 v48, v48                                     // 000000018D5C: 7E604530
	s_nop 1                                                    // 000000018D60: BF800001
	v_mul_f32_e32 v48, 0x42fe0000, v48                         // 000000018D64: 0A6060FF 42FE0000
	v_mul_f32_e32 v112, v48, v240                              // 000000018D6C: 0AE1E130
	v_mul_f32_e32 v113, v48, v241                              // 000000018D70: 0AE3E330
	v_mul_f32_e32 v114, v48, v242                              // 000000018D74: 0AE5E530
	v_mul_f32_e32 v115, v48, v243                              // 000000018D78: 0AE7E730
	v_mul_f32_e32 v116, v48, v244                              // 000000018D7C: 0AE9E930
	v_mul_f32_e32 v117, v48, v245                              // 000000018D80: 0AEBEB30
	v_mul_f32_e32 v118, v48, v246                              // 000000018D84: 0AEDED30
	v_mul_f32_e32 v119, v48, v247                              // 000000018D88: 0AEFEF30
	v_mul_f32_e32 v120, v48, v248                              // 000000018D8C: 0AF1F130
	v_mul_f32_e32 v121, v48, v249                              // 000000018D90: 0AF3F330
	v_mul_f32_e32 v122, v48, v250                              // 000000018D94: 0AF5F530
	v_mul_f32_e32 v123, v48, v251                              // 000000018D98: 0AF7F730
	v_mul_f32_e32 v124, v48, v252                              // 000000018D9C: 0AF9F930
	v_mul_f32_e32 v125, v48, v253                              // 000000018DA0: 0AFBFB30
	v_mul_f32_e32 v126, v48, v254                              // 000000018DA4: 0AFDFD30
	v_mul_f32_e32 v127, v48, v255                              // 000000018DA8: 0AFFFF30
	v_cvt_i32_f32_e32 v112, v112                               // 000000018DAC: 7EE01170
	v_cvt_i32_f32_e32 v113, v113                               // 000000018DB0: 7EE21171
	v_cvt_i32_f32_e32 v114, v114                               // 000000018DB4: 7EE41172
	v_cvt_i32_f32_e32 v115, v115                               // 000000018DB8: 7EE61173
	v_cvt_i32_f32_e32 v116, v116                               // 000000018DBC: 7EE81174
	v_cvt_i32_f32_e32 v117, v117                               // 000000018DC0: 7EEA1175
	v_cvt_i32_f32_e32 v118, v118                               // 000000018DC4: 7EEC1176
	v_cvt_i32_f32_e32 v119, v119                               // 000000018DC8: 7EEE1177
	v_cvt_i32_f32_e32 v120, v120                               // 000000018DCC: 7EF01178
	v_cvt_i32_f32_e32 v121, v121                               // 000000018DD0: 7EF21179
	v_cvt_i32_f32_e32 v122, v122                               // 000000018DD4: 7EF4117A
	v_cvt_i32_f32_e32 v123, v123                               // 000000018DD8: 7EF6117B
	v_cvt_i32_f32_e32 v124, v124                               // 000000018DDC: 7EF8117C
	v_cvt_i32_f32_e32 v125, v125                               // 000000018DE0: 7EFA117D
	v_cvt_i32_f32_e32 v126, v126                               // 000000018DE4: 7EFC117E
	v_cvt_i32_f32_e32 v127, v127                               // 000000018DE8: 7EFE117F
	v_perm_b32 v112, v113, v112, s53                           // 000000018DEC: D1ED0070 00D6E171
	v_perm_b32 v112, v114, v112, s54                           // 000000018DF4: D1ED0070 00DAE172
	v_perm_b32 v112, v115, v112, s55                           // 000000018DFC: D1ED0070 00DEE173
	v_perm_b32 v113, v117, v116, s53                           // 000000018E04: D1ED0071 00D6E975
	v_perm_b32 v113, v118, v113, s54                           // 000000018E0C: D1ED0071 00DAE376
	v_perm_b32 v113, v119, v113, s55                           // 000000018E14: D1ED0071 00DEE377
	v_perm_b32 v114, v121, v120, s53                           // 000000018E1C: D1ED0072 00D6F179
	v_perm_b32 v114, v122, v114, s54                           // 000000018E24: D1ED0072 00DAE57A
	v_perm_b32 v114, v123, v114, s55                           // 000000018E2C: D1ED0072 00DEE57B
	v_perm_b32 v115, v125, v124, s53                           // 000000018E34: D1ED0073 00D6F97D
	v_perm_b32 v115, v126, v115, s54                           // 000000018E3C: D1ED0073 00DAE77E
	v_perm_b32 v115, v127, v115, s55                           // 000000018E44: D1ED0073 00DEE77F
	ds_write_b32 v10, v112 offset:25088                        // 000000018E4C: D81A6200 0000700A
	ds_write_b32 v10, v113 offset:26112                        // 000000018E54: D81A6600 0000710A
	ds_write_b32 v10, v114 offset:27136                        // 000000018E5C: D81A6A00 0000720A
	ds_write_b32 v10, v115 offset:28160                        // 000000018E64: D81A6E00 0000730A
	v_add_f32_e32 v208, v208, v176                             // 000000018E6C: 03A161D0
	v_add_f32_e32 v209, v209, v177                             // 000000018E70: 03A363D1
	v_add_f32_e32 v210, v210, v178                             // 000000018E74: 03A565D2
	v_add_f32_e32 v211, v211, v179                             // 000000018E78: 03A767D3
	v_add_f32_e32 v212, v212, v180                             // 000000018E7C: 03A969D4
	v_add_f32_e32 v213, v213, v181                             // 000000018E80: 03AB6BD5
	v_add_f32_e32 v214, v214, v182                             // 000000018E84: 03AD6DD6
	v_add_f32_e32 v215, v215, v183                             // 000000018E88: 03AF6FD7
	v_rcp_f32_e32 v44, v48                                     // 000000018E8C: 7E584530
	s_waitcnt lgkmcnt(0)                                       // 000000018E90: BF8CC07F
	s_barrier                                                  // 000000018E94: BF8A0000
	ds_read_b64 v[112:113], v9 offset:25088                    // 000000018E98: D8EC6200 70000009
	ds_read_b64 v[114:115], v9 offset:25216                    // 000000018EA0: D8EC6280 72000009
	ds_read_b64 v[116:117], v9 offset:26112                    // 000000018EA8: D8EC6600 74000009
	ds_read_b64 v[118:119], v9 offset:26240                    // 000000018EB0: D8EC6680 76000009
	ds_read_b64 v[120:121], v9 offset:27136                    // 000000018EB8: D8EC6A00 78000009
	ds_read_b64 v[122:123], v9 offset:27264                    // 000000018EC0: D8EC6A80 7A000009
	ds_read_b64 v[124:125], v9 offset:28160                    // 000000018EC8: D8EC6E00 7C000009
	ds_read_b64 v[126:127], v9 offset:28288                    // 000000018ED0: D8EC6E80 7E000009
	v_mov_b32_dpp v64, v43 row_shr:4 row_mask:0xf bank_mask:0xf// 000000018ED8: 7E8002FA FF01142B
	v_mov_b32_dpp v65, v43 row_shl:4 row_mask:0xf bank_mask:0xf// 000000018EE0: 7E8202FA FF01042B
	v_cndmask_b32_e64 v248, v43, v64, s[44:45]                 // 000000018EE8: D10000F8 00B2812B
	v_cndmask_b32_e64 v249, v65, v43, s[44:45]                 // 000000018EF0: D10000F9 00B25741
	v_mov_b32_dpp v64, v248 row_shr:8 row_mask:0xf bank_mask:0xf// 000000018EF8: 7E8002FA FF0118F8
	v_mov_b32_dpp v65, v248 row_shl:8 row_mask:0xf bank_mask:0xf// 000000018F00: 7E8202FA FF0108F8
	v_mov_b32_dpp v66, v249 row_shr:8 row_mask:0xf bank_mask:0xf// 000000018F08: 7E8402FA FF0118F9
	v_mov_b32_dpp v67, v249 row_shl:8 row_mask:0xf bank_mask:0xf// 000000018F10: 7E8602FA FF0108F9
	v_mov_b32_e32 v68, v248                                    // 000000018F18: 7E8803F8
	v_mov_b32_e32 v69, v249                                    // 000000018F1C: 7E8A03F9
	v_cndmask_b32_e64 v248, v68, v64, s[42:43]                 // 000000018F20: D10000F8 00AA8144
	v_cndmask_b32_e64 v250, v68, v65, s[78:79]                 // 000000018F28: D10000FA 013A8344
	v_cndmask_b32_e64 v249, v69, v66, s[42:43]                 // 000000018F30: D10000F9 00AA8545
	v_cndmask_b32_e64 v251, v69, v67, s[78:79]                 // 000000018F38: D10000FB 013A8745
	v_mov_b32_dpp v64, v58 row_shr:4 row_mask:0xf bank_mask:0xf// 000000018F40: 7E8002FA FF01143A
	v_mov_b32_dpp v65, v58 row_shl:4 row_mask:0xf bank_mask:0xf// 000000018F48: 7E8202FA FF01043A
	v_cndmask_b32_e64 v252, v58, v64, s[44:45]                 // 000000018F50: D10000FC 00B2813A
	v_cndmask_b32_e64 v253, v65, v58, s[44:45]                 // 000000018F58: D10000FD 00B27541
	v_mov_b32_dpp v64, v252 row_shr:8 row_mask:0xf bank_mask:0xf// 000000018F60: 7E8002FA FF0118FC
	v_mov_b32_dpp v65, v252 row_shl:8 row_mask:0xf bank_mask:0xf// 000000018F68: 7E8202FA FF0108FC
	v_mov_b32_dpp v66, v253 row_shr:8 row_mask:0xf bank_mask:0xf// 000000018F70: 7E8402FA FF0118FD
	v_mov_b32_dpp v67, v253 row_shl:8 row_mask:0xf bank_mask:0xf// 000000018F78: 7E8602FA FF0108FD
	v_mov_b32_e32 v68, v252                                    // 000000018F80: 7E8803FC
	v_mov_b32_e32 v69, v253                                    // 000000018F84: 7E8A03FD
	v_cndmask_b32_e64 v252, v68, v64, s[42:43]                 // 000000018F88: D10000FC 00AA8144
	v_cndmask_b32_e64 v254, v68, v65, s[78:79]                 // 000000018F90: D10000FE 013A8344
	v_cndmask_b32_e64 v253, v69, v66, s[42:43]                 // 000000018F98: D10000FD 00AA8545
	v_cndmask_b32_e64 v255, v69, v67, s[78:79]                 // 000000018FA0: D10000FF 013A8745
	v_cvt_f32_i32_e32 v128, v128                               // 000000018FA8: 7F000B80
	v_cvt_f32_i32_e32 v129, v129                               // 000000018FAC: 7F020B81
	v_cvt_f32_i32_e32 v130, v130                               // 000000018FB0: 7F040B82
	v_cvt_f32_i32_e32 v131, v131                               // 000000018FB4: 7F060B83
	v_cvt_f32_i32_e32 v132, v132                               // 000000018FB8: 7F080B84
	v_cvt_f32_i32_e32 v133, v133                               // 000000018FBC: 7F0A0B85
	v_cvt_f32_i32_e32 v134, v134                               // 000000018FC0: 7F0C0B86
	v_cvt_f32_i32_e32 v135, v135                               // 000000018FC4: 7F0E0B87
	v_cvt_f32_i32_e32 v136, v136                               // 000000018FC8: 7F100B88
	v_cvt_f32_i32_e32 v137, v137                               // 000000018FCC: 7F120B89
	v_cvt_f32_i32_e32 v138, v138                               // 000000018FD0: 7F140B8A
	v_cvt_f32_i32_e32 v139, v139                               // 000000018FD4: 7F160B8B
	v_cvt_f32_i32_e32 v140, v140                               // 000000018FD8: 7F180B8C
	v_cvt_f32_i32_e32 v141, v141                               // 000000018FDC: 7F1A0B8D
	v_cvt_f32_i32_e32 v142, v142                               // 000000018FE0: 7F1C0B8E
	v_cvt_f32_i32_e32 v143, v143                               // 000000018FE4: 7F1E0B8F
	v_mul_f32_e32 v128, v19, v128                              // 000000018FE8: 0B010113
	v_mul_f32_e32 v129, v19, v129                              // 000000018FEC: 0B030313
	v_mul_f32_e32 v130, v19, v130                              // 000000018FF0: 0B050513
	v_mul_f32_e32 v131, v19, v131                              // 000000018FF4: 0B070713
	v_mul_f32_e32 v132, v19, v132                              // 000000018FF8: 0B090913
	v_mul_f32_e32 v133, v19, v133                              // 000000018FFC: 0B0B0B13
	v_mul_f32_e32 v134, v19, v134                              // 000000019000: 0B0D0D13
	v_mul_f32_e32 v135, v19, v135                              // 000000019004: 0B0F0F13
	v_mul_f32_e32 v136, v19, v136                              // 000000019008: 0B111113
	v_mul_f32_e32 v137, v19, v137                              // 00000001900C: 0B131313
	v_mul_f32_e32 v138, v19, v138                              // 000000019010: 0B151513
	v_mul_f32_e32 v139, v19, v139                              // 000000019014: 0B171713
	v_mul_f32_e32 v140, v19, v140                              // 000000019018: 0B191913
	v_mul_f32_e32 v141, v19, v141                              // 00000001901C: 0B1B1B13
	v_mul_f32_e32 v142, v19, v142                              // 000000019020: 0B1D1D13
	v_mul_f32_e32 v143, v19, v143                              // 000000019024: 0B1F1F13
	v_mul_f32_dpp v128, v248, v128 quad_perm:[0,0,0,0] row_mask:0xf bank_mask:0xf// 000000019028: 0B0100FA FF0000F8
	v_mul_f32_dpp v129, v248, v129 quad_perm:[1,1,1,1] row_mask:0xf bank_mask:0xf// 000000019030: 0B0302FA FF0055F8
	v_mul_f32_dpp v130, v248, v130 quad_perm:[2,2,2,2] row_mask:0xf bank_mask:0xf// 000000019038: 0B0504FA FF00AAF8
	v_mul_f32_dpp v131, v248, v131 quad_perm:[3,3,3,3] row_mask:0xf bank_mask:0xf// 000000019040: 0B0706FA FF00FFF8
	v_mul_f32_dpp v132, v249, v132 quad_perm:[0,0,0,0] row_mask:0xf bank_mask:0xf// 000000019048: 0B0908FA FF0000F9
	v_mul_f32_dpp v133, v249, v133 quad_perm:[1,1,1,1] row_mask:0xf bank_mask:0xf// 000000019050: 0B0B0AFA FF0055F9
	v_mul_f32_dpp v134, v249, v134 quad_perm:[2,2,2,2] row_mask:0xf bank_mask:0xf// 000000019058: 0B0D0CFA FF00AAF9
	v_mul_f32_dpp v135, v249, v135 quad_perm:[3,3,3,3] row_mask:0xf bank_mask:0xf// 000000019060: 0B0F0EFA FF00FFF9
	v_mul_f32_dpp v136, v250, v136 quad_perm:[0,0,0,0] row_mask:0xf bank_mask:0xf// 000000019068: 0B1110FA FF0000FA
	v_mul_f32_dpp v137, v250, v137 quad_perm:[1,1,1,1] row_mask:0xf bank_mask:0xf// 000000019070: 0B1312FA FF0055FA
	v_mul_f32_dpp v138, v250, v138 quad_perm:[2,2,2,2] row_mask:0xf bank_mask:0xf// 000000019078: 0B1514FA FF00AAFA
	v_mul_f32_dpp v139, v250, v139 quad_perm:[3,3,3,3] row_mask:0xf bank_mask:0xf// 000000019080: 0B1716FA FF00FFFA
	v_mul_f32_dpp v140, v251, v140 quad_perm:[0,0,0,0] row_mask:0xf bank_mask:0xf// 000000019088: 0B1918FA FF0000FB
	v_mul_f32_dpp v141, v251, v141 quad_perm:[1,1,1,1] row_mask:0xf bank_mask:0xf// 000000019090: 0B1B1AFA FF0055FB
	v_mul_f32_dpp v142, v251, v142 quad_perm:[2,2,2,2] row_mask:0xf bank_mask:0xf// 000000019098: 0B1D1CFA FF00AAFB
	v_mul_f32_dpp v143, v251, v143 quad_perm:[3,3,3,3] row_mask:0xf bank_mask:0xf// 0000000190A0: 0B1F1EFA FF00FFFB
	s_and_b32 s60, s72, 0xff                                   // 0000000190A8: 863CFF48 000000FF
	v_mov_b32_e32 v65, s60                                     // 0000000190B0: 7E82023C
	v_lshrrev_b32_e32 v240, 4, v0                              // 0000000190B4: 21E00084
	v_mul_i32_i24_e32 v240, 4, v240                            // 0000000190B8: 0DE1E084
	s_mul_i32 s60, s7, 16                                      // 0000000190BC: 923C9007
	v_add_u32_e32 v240, s60, v240                              // 0000000190C0: 69E1E03C
	v_add_u32_e32 v241, 1, v240                                // 0000000190C4: 69E3E081
	v_add_u32_e32 v242, 2, v240                                // 0000000190C8: 69E5E082
	v_add_u32_e32 v243, 3, v240                                // 0000000190CC: 69E7E083
	v_mov_b32_e32 v64, 0xff800000                              // 0000000190D0: 7E8002FF FF800000
	v_cmp_lt_u32_e64 s[40:41], v240, v65                       // 0000000190D8: D0C90028 000283F0
	v_add_u32_e32 v240, 64, v240                               // 0000000190E0: 69E1E0C0
	s_nop 0                                                    // 0000000190E4: BF800000
	v_cndmask_b32_e64 v128, v64, v128, s[40:41]                // 0000000190E8: D1000080 00A30140
	v_cmp_lt_u32_e64 s[40:41], v241, v65                       // 0000000190F0: D0C90028 000283F1
	v_add_u32_e32 v241, 64, v241                               // 0000000190F8: 69E3E2C0
	s_nop 0                                                    // 0000000190FC: BF800000
	v_cndmask_b32_e64 v129, v64, v129, s[40:41]                // 000000019100: D1000081 00A30340
	v_cmp_lt_u32_e64 s[40:41], v242, v65                       // 000000019108: D0C90028 000283F2
	v_add_u32_e32 v242, 64, v242                               // 000000019110: 69E5E4C0
	s_nop 0                                                    // 000000019114: BF800000
	v_cndmask_b32_e64 v130, v64, v130, s[40:41]                // 000000019118: D1000082 00A30540
	v_cmp_lt_u32_e64 s[40:41], v243, v65                       // 000000019120: D0C90028 000283F3
	v_add_u32_e32 v243, 64, v243                               // 000000019128: 69E7E6C0
	s_nop 0                                                    // 00000001912C: BF800000
	v_cndmask_b32_e64 v131, v64, v131, s[40:41]                // 000000019130: D1000083 00A30740
	v_cmp_lt_u32_e64 s[40:41], v240, v65                       // 000000019138: D0C90028 000283F0
	v_add_u32_e32 v240, 64, v240                               // 000000019140: 69E1E0C0
	s_nop 0                                                    // 000000019144: BF800000
	v_cndmask_b32_e64 v132, v64, v132, s[40:41]                // 000000019148: D1000084 00A30940
	v_cmp_lt_u32_e64 s[40:41], v241, v65                       // 000000019150: D0C90028 000283F1
	v_add_u32_e32 v241, 64, v241                               // 000000019158: 69E3E2C0
	s_nop 0                                                    // 00000001915C: BF800000
	v_cndmask_b32_e64 v133, v64, v133, s[40:41]                // 000000019160: D1000085 00A30B40
	v_cmp_lt_u32_e64 s[40:41], v242, v65                       // 000000019168: D0C90028 000283F2
	v_add_u32_e32 v242, 64, v242                               // 000000019170: 69E5E4C0
	s_nop 0                                                    // 000000019174: BF800000
	v_cndmask_b32_e64 v134, v64, v134, s[40:41]                // 000000019178: D1000086 00A30D40
	v_cmp_lt_u32_e64 s[40:41], v243, v65                       // 000000019180: D0C90028 000283F3
	v_add_u32_e32 v243, 64, v243                               // 000000019188: 69E7E6C0
	s_nop 0                                                    // 00000001918C: BF800000
	v_cndmask_b32_e64 v135, v64, v135, s[40:41]                // 000000019190: D1000087 00A30F40
	v_cmp_lt_u32_e64 s[40:41], v240, v65                       // 000000019198: D0C90028 000283F0
	v_add_u32_e32 v240, 64, v240                               // 0000000191A0: 69E1E0C0
	s_nop 0                                                    // 0000000191A4: BF800000
	v_cndmask_b32_e64 v136, v64, v136, s[40:41]                // 0000000191A8: D1000088 00A31140
	v_cmp_lt_u32_e64 s[40:41], v241, v65                       // 0000000191B0: D0C90028 000283F1
	v_add_u32_e32 v241, 64, v241                               // 0000000191B8: 69E3E2C0
	s_nop 0                                                    // 0000000191BC: BF800000
	v_cndmask_b32_e64 v137, v64, v137, s[40:41]                // 0000000191C0: D1000089 00A31340
	v_cmp_lt_u32_e64 s[40:41], v242, v65                       // 0000000191C8: D0C90028 000283F2
	v_add_u32_e32 v242, 64, v242                               // 0000000191D0: 69E5E4C0
	s_nop 0                                                    // 0000000191D4: BF800000
	v_cndmask_b32_e64 v138, v64, v138, s[40:41]                // 0000000191D8: D100008A 00A31540
	v_cmp_lt_u32_e64 s[40:41], v243, v65                       // 0000000191E0: D0C90028 000283F3
	v_add_u32_e32 v243, 64, v243                               // 0000000191E8: 69E7E6C0
	s_nop 0                                                    // 0000000191EC: BF800000
	v_cndmask_b32_e64 v139, v64, v139, s[40:41]                // 0000000191F0: D100008B 00A31740
	v_cmp_lt_u32_e64 s[40:41], v240, v65                       // 0000000191F8: D0C90028 000283F0
	v_add_u32_e32 v240, 64, v240                               // 000000019200: 69E1E0C0
	s_nop 0                                                    // 000000019204: BF800000
	v_cndmask_b32_e64 v140, v64, v140, s[40:41]                // 000000019208: D100008C 00A31940
	v_cmp_lt_u32_e64 s[40:41], v241, v65                       // 000000019210: D0C90028 000283F1
	v_add_u32_e32 v241, 64, v241                               // 000000019218: 69E3E2C0
	s_nop 0                                                    // 00000001921C: BF800000
	v_cndmask_b32_e64 v141, v64, v141, s[40:41]                // 000000019220: D100008D 00A31B40
	v_cmp_lt_u32_e64 s[40:41], v242, v65                       // 000000019228: D0C90028 000283F2
	v_add_u32_e32 v242, 64, v242                               // 000000019230: 69E5E4C0
	s_nop 0                                                    // 000000019234: BF800000
	v_cndmask_b32_e64 v142, v64, v142, s[40:41]                // 000000019238: D100008E 00A31D40
	v_cmp_lt_u32_e64 s[40:41], v243, v65                       // 000000019240: D0C90028 000283F3
	v_add_u32_e32 v243, 64, v243                               // 000000019248: 69E7E6C0
	s_nop 0                                                    // 00000001924C: BF800000
	v_cndmask_b32_e64 v143, v64, v143, s[40:41]                // 000000019250: D100008F 00A31F40
	v_mov_b32_e32 v48, v128                                    // 000000019258: 7E600380
	v_max3_f32 v48, v128, v129, v48                            // 00000001925C: D1D30030 04C30380
	v_max3_f32 v48, v130, v131, v48                            // 000000019264: D1D30030 04C30782
	v_max3_f32 v48, v132, v133, v48                            // 00000001926C: D1D30030 04C30B84
	v_max3_f32 v48, v134, v135, v48                            // 000000019274: D1D30030 04C30F86
	v_max3_f32 v48, v136, v137, v48                            // 00000001927C: D1D30030 04C31388
	v_max3_f32 v48, v138, v139, v48                            // 000000019284: D1D30030 04C3178A
	v_max3_f32 v48, v140, v141, v48                            // 00000001928C: D1D30030 04C31B8C
	v_max3_f32 v48, v142, v143, v48                            // 000000019294: D1D30030 04C31F8E
	ds_write_b32 v8, v48 offset:16896                          // 00000001929C: D81A4200 00003008
	v_mul_f32_e32 v216, v50, v216                              // 0000000192A4: 0BB1B132
	v_mul_f32_e32 v217, v50, v217                              // 0000000192A8: 0BB3B332
	v_mul_f32_e32 v218, v50, v218                              // 0000000192AC: 0BB5B532
	v_mul_f32_e32 v219, v50, v219                              // 0000000192B0: 0BB7B732
	v_mul_f32_e32 v220, v50, v220                              // 0000000192B4: 0BB9B932
	v_mul_f32_e32 v221, v50, v221                              // 0000000192B8: 0BBBBB32
	v_mul_f32_e32 v222, v50, v222                              // 0000000192BC: 0BBDBD32
	v_mul_f32_e32 v223, v50, v223                              // 0000000192C0: 0BBFBF32
	s_waitcnt lgkmcnt(0)                                       // 0000000192C4: BF8CC07F
	s_barrier                                                  // 0000000192C8: BF8A0000
	ds_read_b32 v64, v7 offset:16896                           // 0000000192CC: D86C4200 40000007
	ds_read_b32 v65, v7 offset:16960                           // 0000000192D4: D86C4240 41000007
	ds_read_b32 v66, v7 offset:17024                           // 0000000192DC: D86C4280 42000007
	ds_read_b32 v67, v7 offset:17088                           // 0000000192E4: D86C42C0 43000007
	ds_read_b32 v68, v7 offset:17152                           // 0000000192EC: D86C4300 44000007
	ds_read_b32 v69, v7 offset:17216                           // 0000000192F4: D86C4340 45000007
	ds_read_b32 v70, v7 offset:17280                           // 0000000192FC: D86C4380 46000007
	ds_read_b32 v71, v7 offset:17344                           // 000000019304: D86C43C0 47000007
	ds_read_b32 v72, v7 offset:17408                           // 00000001930C: D86C4400 48000007
	ds_read_b32 v73, v7 offset:17472                           // 000000019314: D86C4440 49000007
	ds_read_b32 v74, v7 offset:17536                           // 00000001931C: D86C4480 4A000007
	ds_read_b32 v75, v7 offset:17600                           // 000000019324: D86C44C0 4B000007
	ds_read_b32 v76, v7 offset:17664                           // 00000001932C: D86C4500 4C000007
	ds_read_b32 v77, v7 offset:17728                           // 000000019334: D86C4540 4D000007
	ds_read_b32 v78, v7 offset:17792                           // 00000001933C: D86C4580 4E000007
	ds_read_b32 v79, v7 offset:17856                           // 000000019344: D86C45C0 4F000007
	v_cvt_f32_i32_e32 v184, v184                               // 00000001934C: 7F700BB8
	v_cvt_f32_i32_e32 v185, v185                               // 000000019350: 7F720BB9
	v_cvt_f32_i32_e32 v186, v186                               // 000000019354: 7F740BBA
	v_cvt_f32_i32_e32 v187, v187                               // 000000019358: 7F760BBB
	v_cvt_f32_i32_e32 v188, v188                               // 00000001935C: 7F780BBC
	v_cvt_f32_i32_e32 v189, v189                               // 000000019360: 7F7A0BBD
	v_cvt_f32_i32_e32 v190, v190                               // 000000019364: 7F7C0BBE
	v_cvt_f32_i32_e32 v191, v191                               // 000000019368: 7F7E0BBF
	v_mul_f32_e32 v184, v45, v184                              // 00000001936C: 0B71712D
	v_mul_f32_e32 v185, v45, v185                              // 000000019370: 0B73732D
	v_mul_f32_e32 v186, v45, v186                              // 000000019374: 0B75752D
	v_mul_f32_e32 v187, v45, v187                              // 000000019378: 0B77772D
	v_mul_f32_e32 v188, v45, v188                              // 00000001937C: 0B79792D
	v_mul_f32_e32 v189, v45, v189                              // 000000019380: 0B7B7B2D
	v_mul_f32_e32 v190, v45, v190                              // 000000019384: 0B7D7D2D
	v_mul_f32_e32 v191, v45, v191                              // 000000019388: 0B7F7F2D
	s_waitcnt lgkmcnt(0)                                       // 00000001938C: BF8CC07F
	v_max3_f32 v48, v64, v65, v48                              // 000000019390: D1D30030 04C28340
	v_max3_f32 v48, v66, v67, v48                              // 000000019398: D1D30030 04C28742
	v_max3_f32 v48, v68, v69, v48                              // 0000000193A0: D1D30030 04C28B44
	v_max3_f32 v48, v70, v71, v48                              // 0000000193A8: D1D30030 04C28F46
	v_max3_f32 v48, v72, v73, v48                              // 0000000193B0: D1D30030 04C29348
	v_max3_f32 v48, v74, v75, v48                              // 0000000193B8: D1D30030 04C2974A
	v_max3_f32 v48, v76, v77, v48                              // 0000000193C0: D1D30030 04C29B4C
	v_max3_f32 v48, v78, v79, v48                              // 0000000193C8: D1D30030 04C29F4E
	v_mov_b32_e32 v64, 0xff800000                              // 0000000193D0: 7E8002FF FF800000
	v_cmp_eq_u32_e64 s[40:41], v64, v12                        // 0000000193D8: D0CA0028 00021940
	s_nop 1                                                    // 0000000193E0: BF800001
	v_max_f32_e32 v15, v48, v12                                // 0000000193E4: 161E1930
	v_mul_f32_e32 v53, s64, v15                                // 0000000193E8: 0A6A1E40
	v_fma_f32 v128, v128, s64, -v53                            // 0000000193EC: D1CB0080 84D48180
	v_fma_f32 v129, v129, s64, -v53                            // 0000000193F4: D1CB0081 84D48181
	v_fma_f32 v130, v130, s64, -v53                            // 0000000193FC: D1CB0082 84D48182
	v_fma_f32 v131, v131, s64, -v53                            // 000000019404: D1CB0083 84D48183
	v_fma_f32 v132, v132, s64, -v53                            // 00000001940C: D1CB0084 84D48184
	v_fma_f32 v133, v133, s64, -v53                            // 000000019414: D1CB0085 84D48185
	v_fma_f32 v134, v134, s64, -v53                            // 00000001941C: D1CB0086 84D48186
	v_fma_f32 v135, v135, s64, -v53                            // 000000019424: D1CB0087 84D48187
	v_fma_f32 v136, v136, s64, -v53                            // 00000001942C: D1CB0088 84D48188
	v_fma_f32 v137, v137, s64, -v53                            // 000000019434: D1CB0089 84D48189
	v_fma_f32 v138, v138, s64, -v53                            // 00000001943C: D1CB008A 84D4818A
	v_fma_f32 v139, v139, s64, -v53                            // 000000019444: D1CB008B 84D4818B
	v_fma_f32 v140, v140, s64, -v53                            // 00000001944C: D1CB008C 84D4818C
	v_fma_f32 v141, v141, s64, -v53                            // 000000019454: D1CB008D 84D4818D
	v_fma_f32 v142, v142, s64, -v53                            // 00000001945C: D1CB008E 84D4818E
	v_fma_f32 v143, v143, s64, -v53                            // 000000019464: D1CB008F 84D4818F
	v_exp_f32_e32 v128, v128                                   // 00000001946C: 7F004180
	v_exp_f32_e32 v129, v129                                   // 000000019470: 7F024181
	v_exp_f32_e32 v130, v130                                   // 000000019474: 7F044182
	v_exp_f32_e32 v131, v131                                   // 000000019478: 7F064183
	v_exp_f32_e32 v132, v132                                   // 00000001947C: 7F084184
	v_exp_f32_e32 v133, v133                                   // 000000019480: 7F0A4185
	v_exp_f32_e32 v134, v134                                   // 000000019484: 7F0C4186
	v_exp_f32_e32 v135, v135                                   // 000000019488: 7F0E4187
	v_exp_f32_e32 v136, v136                                   // 00000001948C: 7F104188
	v_exp_f32_e32 v137, v137                                   // 000000019490: 7F124189
	v_exp_f32_e32 v138, v138                                   // 000000019494: 7F14418A
	v_exp_f32_e32 v139, v139                                   // 000000019498: 7F16418B
	v_exp_f32_e32 v140, v140                                   // 00000001949C: 7F18418C
	v_exp_f32_e32 v141, v141                                   // 0000000194A0: 7F1A418D
	v_exp_f32_e32 v142, v142                                   // 0000000194A4: 7F1C418E
	v_exp_f32_e32 v143, v143                                   // 0000000194A8: 7F1E418F
	v_mul_f32_dpp v240, v252, v128 quad_perm:[0,0,0,0] row_mask:0xf bank_mask:0xf// 0000000194AC: 0BE100FA FF0000FC
	v_mul_f32_dpp v241, v252, v129 quad_perm:[1,1,1,1] row_mask:0xf bank_mask:0xf// 0000000194B4: 0BE302FA FF0055FC
	v_mul_f32_dpp v242, v252, v130 quad_perm:[2,2,2,2] row_mask:0xf bank_mask:0xf// 0000000194BC: 0BE504FA FF00AAFC
	v_mul_f32_dpp v243, v252, v131 quad_perm:[3,3,3,3] row_mask:0xf bank_mask:0xf// 0000000194C4: 0BE706FA FF00FFFC
	v_mul_f32_dpp v244, v253, v132 quad_perm:[0,0,0,0] row_mask:0xf bank_mask:0xf// 0000000194CC: 0BE908FA FF0000FD
	v_mul_f32_dpp v245, v253, v133 quad_perm:[1,1,1,1] row_mask:0xf bank_mask:0xf// 0000000194D4: 0BEB0AFA FF0055FD
	v_mul_f32_dpp v246, v253, v134 quad_perm:[2,2,2,2] row_mask:0xf bank_mask:0xf// 0000000194DC: 0BED0CFA FF00AAFD
	v_mul_f32_dpp v247, v253, v135 quad_perm:[3,3,3,3] row_mask:0xf bank_mask:0xf// 0000000194E4: 0BEF0EFA FF00FFFD
	v_mul_f32_dpp v248, v254, v136 quad_perm:[0,0,0,0] row_mask:0xf bank_mask:0xf// 0000000194EC: 0BF110FA FF0000FE
	v_mul_f32_dpp v249, v254, v137 quad_perm:[1,1,1,1] row_mask:0xf bank_mask:0xf// 0000000194F4: 0BF312FA FF0055FE
	v_mul_f32_dpp v250, v254, v138 quad_perm:[2,2,2,2] row_mask:0xf bank_mask:0xf// 0000000194FC: 0BF514FA FF00AAFE
	v_mul_f32_dpp v251, v254, v139 quad_perm:[3,3,3,3] row_mask:0xf bank_mask:0xf// 000000019504: 0BF716FA FF00FFFE
	v_mul_f32_dpp v252, v255, v140 quad_perm:[0,0,0,0] row_mask:0xf bank_mask:0xf// 00000001950C: 0BF918FA FF0000FF
	v_mul_f32_dpp v253, v255, v141 quad_perm:[1,1,1,1] row_mask:0xf bank_mask:0xf// 000000019514: 0BFB1AFA FF0055FF
	v_mul_f32_dpp v254, v255, v142 quad_perm:[2,2,2,2] row_mask:0xf bank_mask:0xf// 00000001951C: 0BFD1CFA FF00AAFF
	v_mul_f32_dpp v255, v255, v143 quad_perm:[3,3,3,3] row_mask:0xf bank_mask:0xf// 000000019524: 0BFF1EFA FF00FFFF
	v_mov_b32_e32 v48, 0x358637bd                              // 00000001952C: 7E6002FF 358637BD
	v_max3_f32 v48, |v240|, |v241|, v48                        // 000000019534: D1D30330 04C3E3F0
	v_max3_f32 v48, |v242|, |v243|, v48                        // 00000001953C: D1D30330 04C3E7F2
	v_max3_f32 v48, |v244|, |v245|, v48                        // 000000019544: D1D30330 04C3EBF4
	v_max3_f32 v48, |v246|, |v247|, v48                        // 00000001954C: D1D30330 04C3EFF6
	v_max3_f32 v48, |v248|, |v249|, v48                        // 000000019554: D1D30330 04C3F3F8
	v_max3_f32 v48, |v250|, |v251|, v48                        // 00000001955C: D1D30330 04C3F7FA
	v_max3_f32 v48, |v252|, |v253|, v48                        // 000000019564: D1D30330 04C3FBFC
	v_max3_f32 v48, |v254|, |v255|, v48                        // 00000001956C: D1D30330 04C3FFFE
	ds_write_b32 v8, v48 offset:20992                          // 000000019574: D81A5200 00003008
	v_sub_f32_e32 v50, v12, v15                                // 00000001957C: 04641F0C
	v_cndmask_b32_e64 v50, v50, 0, s[40:41]                    // 000000019580: D1000032 00A10132
	v_mov_b32_e32 v12, v15                                     // 000000019588: 7E18030F
	v_mul_f32_e32 v50, s64, v50                                // 00000001958C: 0A646440
	v_exp_f32_e32 v50, v50                                     // 000000019590: 7E644132
	s_waitcnt lgkmcnt(0)                                       // 000000019594: BF8CC07F
	s_barrier                                                  // 000000019598: BF8A0000
	ds_read_b32 v64, v7 offset:20992                           // 00000001959C: D86C5200 40000007
	ds_read_b32 v65, v7 offset:21056                           // 0000000195A4: D86C5240 41000007
	ds_read_b32 v66, v7 offset:21120                           // 0000000195AC: D86C5280 42000007
	ds_read_b32 v67, v7 offset:21184                           // 0000000195B4: D86C52C0 43000007
	ds_read_b32 v68, v7 offset:21248                           // 0000000195BC: D86C5300 44000007
	ds_read_b32 v69, v7 offset:21312                           // 0000000195C4: D86C5340 45000007
	ds_read_b32 v70, v7 offset:21376                           // 0000000195CC: D86C5380 46000007
	ds_read_b32 v71, v7 offset:21440                           // 0000000195D4: D86C53C0 47000007
	ds_read_b32 v72, v7 offset:21504                           // 0000000195DC: D86C5400 48000007
	ds_read_b32 v73, v7 offset:21568                           // 0000000195E4: D86C5440 49000007
	ds_read_b32 v74, v7 offset:21632                           // 0000000195EC: D86C5480 4A000007
	ds_read_b32 v75, v7 offset:21696                           // 0000000195F4: D86C54C0 4B000007
	ds_read_b32 v76, v7 offset:21760                           // 0000000195FC: D86C5500 4C000007
	ds_read_b32 v77, v7 offset:21824                           // 000000019604: D86C5540 4D000007
	ds_read_b32 v78, v7 offset:21888                           // 00000001960C: D86C5580 4E000007
	ds_read_b32 v79, v7 offset:21952                           // 000000019614: D86C55C0 4F000007
	v_mul_f32_e32 v39, v50, v39                                // 00000001961C: 0A4E4F32
	v_mov_b32_e32 v15, v128                                    // 000000019620: 7E1E0380
	v_add_f32_e32 v15, v129, v15                               // 000000019624: 021E1F81
	v_add_f32_e32 v15, v130, v15                               // 000000019628: 021E1F82
	v_add_f32_e32 v15, v131, v15                               // 00000001962C: 021E1F83
	v_add_f32_e32 v15, v132, v15                               // 000000019630: 021E1F84
	v_add_f32_e32 v15, v133, v15                               // 000000019634: 021E1F85
	v_add_f32_e32 v15, v134, v15                               // 000000019638: 021E1F86
	v_add_f32_e32 v15, v135, v15                               // 00000001963C: 021E1F87
	v_add_f32_e32 v15, v136, v15                               // 000000019640: 021E1F88
	v_add_f32_e32 v15, v137, v15                               // 000000019644: 021E1F89
	v_add_f32_e32 v15, v138, v15                               // 000000019648: 021E1F8A
	v_add_f32_e32 v15, v139, v15                               // 00000001964C: 021E1F8B
	v_add_f32_e32 v15, v140, v15                               // 000000019650: 021E1F8C
	v_add_f32_e32 v15, v141, v15                               // 000000019654: 021E1F8D
	v_add_f32_e32 v15, v142, v15                               // 000000019658: 021E1F8E
	v_add_f32_e32 v15, v143, v15                               // 00000001965C: 021E1F8F
	v_add_f32_e32 v39, v15, v39                                // 000000019660: 024E4F0F
	s_waitcnt lgkmcnt(0)                                       // 000000019664: BF8CC07F
	v_max3_f32 v48, |v64|, |v65|, v48                          // 000000019668: D1D30330 04C28340
	v_max3_f32 v48, |v66|, |v67|, v48                          // 000000019670: D1D30330 04C28742
	v_max3_f32 v48, |v68|, |v69|, v48                          // 000000019678: D1D30330 04C28B44
	v_max3_f32 v48, |v70|, |v71|, v48                          // 000000019680: D1D30330 04C28F46
	v_max3_f32 v48, |v72|, |v73|, v48                          // 000000019688: D1D30330 04C29348
	v_max3_f32 v48, |v74|, |v75|, v48                          // 000000019690: D1D30330 04C2974A
	v_max3_f32 v48, |v76|, |v77|, v48                          // 000000019698: D1D30330 04C29B4C
	v_max3_f32 v48, |v78|, |v79|, v48                          // 0000000196A0: D1D30330 04C29F4E
	s_nop 2                                                    // 0000000196A8: BF800002
	v_rcp_f32_e32 v48, v48                                     // 0000000196AC: 7E604530
	s_nop 1                                                    // 0000000196B0: BF800001
	v_mul_f32_e32 v48, 0x42fe0000, v48                         // 0000000196B4: 0A6060FF 42FE0000
	v_mul_f32_e32 v128, v48, v240                              // 0000000196BC: 0B01E130
	v_mul_f32_e32 v129, v48, v241                              // 0000000196C0: 0B03E330
	v_mul_f32_e32 v130, v48, v242                              // 0000000196C4: 0B05E530
	v_mul_f32_e32 v131, v48, v243                              // 0000000196C8: 0B07E730
	v_mul_f32_e32 v132, v48, v244                              // 0000000196CC: 0B09E930
	v_mul_f32_e32 v133, v48, v245                              // 0000000196D0: 0B0BEB30
	v_mul_f32_e32 v134, v48, v246                              // 0000000196D4: 0B0DED30
	v_mul_f32_e32 v135, v48, v247                              // 0000000196D8: 0B0FEF30
	v_mul_f32_e32 v136, v48, v248                              // 0000000196DC: 0B11F130
	v_mul_f32_e32 v137, v48, v249                              // 0000000196E0: 0B13F330
	v_mul_f32_e32 v138, v48, v250                              // 0000000196E4: 0B15F530
	v_mul_f32_e32 v139, v48, v251                              // 0000000196E8: 0B17F730
	v_mul_f32_e32 v140, v48, v252                              // 0000000196EC: 0B19F930
	v_mul_f32_e32 v141, v48, v253                              // 0000000196F0: 0B1BFB30
	v_mul_f32_e32 v142, v48, v254                              // 0000000196F4: 0B1DFD30
	v_mul_f32_e32 v143, v48, v255                              // 0000000196F8: 0B1FFF30
	v_cvt_i32_f32_e32 v128, v128                               // 0000000196FC: 7F001180
	v_cvt_i32_f32_e32 v129, v129                               // 000000019700: 7F021181
	v_cvt_i32_f32_e32 v130, v130                               // 000000019704: 7F041182
	v_cvt_i32_f32_e32 v131, v131                               // 000000019708: 7F061183
	v_cvt_i32_f32_e32 v132, v132                               // 00000001970C: 7F081184
	v_cvt_i32_f32_e32 v133, v133                               // 000000019710: 7F0A1185
	v_cvt_i32_f32_e32 v134, v134                               // 000000019714: 7F0C1186
	v_cvt_i32_f32_e32 v135, v135                               // 000000019718: 7F0E1187
	v_cvt_i32_f32_e32 v136, v136                               // 00000001971C: 7F101188
	v_cvt_i32_f32_e32 v137, v137                               // 000000019720: 7F121189
	v_cvt_i32_f32_e32 v138, v138                               // 000000019724: 7F14118A
	v_cvt_i32_f32_e32 v139, v139                               // 000000019728: 7F16118B
	v_cvt_i32_f32_e32 v140, v140                               // 00000001972C: 7F18118C
	v_cvt_i32_f32_e32 v141, v141                               // 000000019730: 7F1A118D
	v_cvt_i32_f32_e32 v142, v142                               // 000000019734: 7F1C118E
	v_cvt_i32_f32_e32 v143, v143                               // 000000019738: 7F1E118F
	v_perm_b32 v128, v129, v128, s53                           // 00000001973C: D1ED0080 00D70181
	v_perm_b32 v128, v130, v128, s54                           // 000000019744: D1ED0080 00DB0182
	v_perm_b32 v128, v131, v128, s55                           // 00000001974C: D1ED0080 00DF0183
	v_perm_b32 v129, v133, v132, s53                           // 000000019754: D1ED0081 00D70985
	v_perm_b32 v129, v134, v129, s54                           // 00000001975C: D1ED0081 00DB0386
	v_perm_b32 v129, v135, v129, s55                           // 000000019764: D1ED0081 00DF0387
	v_perm_b32 v130, v137, v136, s53                           // 00000001976C: D1ED0082 00D71189
	v_perm_b32 v130, v138, v130, s54                           // 000000019774: D1ED0082 00DB058A
	v_perm_b32 v130, v139, v130, s55                           // 00000001977C: D1ED0082 00DF058B
	v_perm_b32 v131, v141, v140, s53                           // 000000019784: D1ED0083 00D7198D
	v_perm_b32 v131, v142, v131, s54                           // 00000001978C: D1ED0083 00DB078E
	v_perm_b32 v131, v143, v131, s55                           // 000000019794: D1ED0083 00DF078F
	ds_write_b32 v10, v128 offset:29184                        // 00000001979C: D81A7200 0000800A
	ds_write_b32 v10, v129 offset:30208                        // 0000000197A4: D81A7600 0000810A
	ds_write_b32 v10, v130 offset:31232                        // 0000000197AC: D81A7A00 0000820A
	ds_write_b32 v10, v131 offset:32256                        // 0000000197B4: D81A7E00 0000830A
	v_add_f32_e32 v216, v216, v184                             // 0000000197BC: 03B171D8
	v_add_f32_e32 v217, v217, v185                             // 0000000197C0: 03B373D9
	v_add_f32_e32 v218, v218, v186                             // 0000000197C4: 03B575DA
	v_add_f32_e32 v219, v219, v187                             // 0000000197C8: 03B777DB
	v_add_f32_e32 v220, v220, v188                             // 0000000197CC: 03B979DC
	v_add_f32_e32 v221, v221, v189                             // 0000000197D0: 03BB7BDD
	v_add_f32_e32 v222, v222, v190                             // 0000000197D4: 03BD7DDE
	v_add_f32_e32 v223, v223, v191                             // 0000000197D8: 03BF7FDF
	v_rcp_f32_e32 v45, v48                                     // 0000000197DC: 7E5A4530
	s_waitcnt lgkmcnt(0)                                       // 0000000197E0: BF8CC07F
	s_barrier                                                  // 0000000197E4: BF8A0000
	ds_read_b64 v[128:129], v9 offset:29184                    // 0000000197E8: D8EC7200 80000009
	ds_read_b64 v[130:131], v9 offset:29312                    // 0000000197F0: D8EC7280 82000009
	ds_read_b64 v[132:133], v9 offset:30208                    // 0000000197F8: D8EC7600 84000009
	ds_read_b64 v[134:135], v9 offset:30336                    // 000000019800: D8EC7680 86000009
	ds_read_b64 v[136:137], v9 offset:31232                    // 000000019808: D8EC7A00 88000009
	ds_read_b64 v[138:139], v9 offset:31360                    // 000000019810: D8EC7A80 8A000009
	ds_read_b64 v[140:141], v9 offset:32256                    // 000000019818: D8EC7E00 8C000009
	ds_read_b64 v[142:143], v9 offset:32384                    // 000000019820: D8EC7E80 8E000009
	v_mov_b32_dpp v64, v43 row_shr:4 row_mask:0xf bank_mask:0xf// 000000019828: 7E8002FA FF01142B
	v_mov_b32_dpp v65, v43 row_shl:4 row_mask:0xf bank_mask:0xf// 000000019830: 7E8202FA FF01042B
	v_cndmask_b32_e64 v248, v43, v64, s[44:45]                 // 000000019838: D10000F8 00B2812B
	v_cndmask_b32_e64 v249, v65, v43, s[44:45]                 // 000000019840: D10000F9 00B25741
	v_mov_b32_dpp v64, v248 row_shr:8 row_mask:0xf bank_mask:0xf// 000000019848: 7E8002FA FF0118F8
	v_mov_b32_dpp v65, v248 row_shl:8 row_mask:0xf bank_mask:0xf// 000000019850: 7E8202FA FF0108F8
	v_mov_b32_dpp v66, v249 row_shr:8 row_mask:0xf bank_mask:0xf// 000000019858: 7E8402FA FF0118F9
	v_mov_b32_dpp v67, v249 row_shl:8 row_mask:0xf bank_mask:0xf// 000000019860: 7E8602FA FF0108F9
	v_mov_b32_e32 v68, v248                                    // 000000019868: 7E8803F8
	v_mov_b32_e32 v69, v249                                    // 00000001986C: 7E8A03F9
	v_cndmask_b32_e64 v248, v68, v64, s[42:43]                 // 000000019870: D10000F8 00AA8144
	v_cndmask_b32_e64 v250, v68, v65, s[78:79]                 // 000000019878: D10000FA 013A8344
	v_cndmask_b32_e64 v249, v69, v66, s[42:43]                 // 000000019880: D10000F9 00AA8545
	v_cndmask_b32_e64 v251, v69, v67, s[78:79]                 // 000000019888: D10000FB 013A8745
	v_mov_b32_dpp v64, v58 row_shr:4 row_mask:0xf bank_mask:0xf// 000000019890: 7E8002FA FF01143A
	v_mov_b32_dpp v65, v58 row_shl:4 row_mask:0xf bank_mask:0xf// 000000019898: 7E8202FA FF01043A
	v_cndmask_b32_e64 v252, v58, v64, s[44:45]                 // 0000000198A0: D10000FC 00B2813A
	v_cndmask_b32_e64 v253, v65, v58, s[44:45]                 // 0000000198A8: D10000FD 00B27541
	v_mov_b32_dpp v64, v252 row_shr:8 row_mask:0xf bank_mask:0xf// 0000000198B0: 7E8002FA FF0118FC
	v_mov_b32_dpp v65, v252 row_shl:8 row_mask:0xf bank_mask:0xf// 0000000198B8: 7E8202FA FF0108FC
	v_mov_b32_dpp v66, v253 row_shr:8 row_mask:0xf bank_mask:0xf// 0000000198C0: 7E8402FA FF0118FD
	v_mov_b32_dpp v67, v253 row_shl:8 row_mask:0xf bank_mask:0xf// 0000000198C8: 7E8602FA FF0108FD
	v_mov_b32_e32 v68, v252                                    // 0000000198D0: 7E8803FC
	v_mov_b32_e32 v69, v253                                    // 0000000198D4: 7E8A03FD
	v_cndmask_b32_e64 v252, v68, v64, s[42:43]                 // 0000000198D8: D10000FC 00AA8144
	v_cndmask_b32_e64 v254, v68, v65, s[78:79]                 // 0000000198E0: D10000FE 013A8344
	v_cndmask_b32_e64 v253, v69, v66, s[42:43]                 // 0000000198E8: D10000FD 00AA8545
	v_cndmask_b32_e64 v255, v69, v67, s[78:79]                 // 0000000198F0: D10000FF 013A8745
	v_cvt_f32_i32_e32 v144, v144                               // 0000000198F8: 7F200B90
	v_cvt_f32_i32_e32 v145, v145                               // 0000000198FC: 7F220B91
	v_cvt_f32_i32_e32 v146, v146                               // 000000019900: 7F240B92
	v_cvt_f32_i32_e32 v147, v147                               // 000000019904: 7F260B93
	v_cvt_f32_i32_e32 v148, v148                               // 000000019908: 7F280B94
	v_cvt_f32_i32_e32 v149, v149                               // 00000001990C: 7F2A0B95
	v_cvt_f32_i32_e32 v150, v150                               // 000000019910: 7F2C0B96
	v_cvt_f32_i32_e32 v151, v151                               // 000000019914: 7F2E0B97
	v_cvt_f32_i32_e32 v152, v152                               // 000000019918: 7F300B98
	v_cvt_f32_i32_e32 v153, v153                               // 00000001991C: 7F320B99
	v_cvt_f32_i32_e32 v154, v154                               // 000000019920: 7F340B9A
	v_cvt_f32_i32_e32 v155, v155                               // 000000019924: 7F360B9B
	v_cvt_f32_i32_e32 v156, v156                               // 000000019928: 7F380B9C
	v_cvt_f32_i32_e32 v157, v157                               // 00000001992C: 7F3A0B9D
	v_cvt_f32_i32_e32 v158, v158                               // 000000019930: 7F3C0B9E
	v_cvt_f32_i32_e32 v159, v159                               // 000000019934: 7F3E0B9F
	v_mul_f32_e32 v144, v20, v144                              // 000000019938: 0B212114
	v_mul_f32_e32 v145, v20, v145                              // 00000001993C: 0B232314
	v_mul_f32_e32 v146, v20, v146                              // 000000019940: 0B252514
	v_mul_f32_e32 v147, v20, v147                              // 000000019944: 0B272714
	v_mul_f32_e32 v148, v20, v148                              // 000000019948: 0B292914
	v_mul_f32_e32 v149, v20, v149                              // 00000001994C: 0B2B2B14
	v_mul_f32_e32 v150, v20, v150                              // 000000019950: 0B2D2D14
	v_mul_f32_e32 v151, v20, v151                              // 000000019954: 0B2F2F14
	v_mul_f32_e32 v152, v20, v152                              // 000000019958: 0B313114
	v_mul_f32_e32 v153, v20, v153                              // 00000001995C: 0B333314
	v_mul_f32_e32 v154, v20, v154                              // 000000019960: 0B353514
	v_mul_f32_e32 v155, v20, v155                              // 000000019964: 0B373714
	v_mul_f32_e32 v156, v20, v156                              // 000000019968: 0B393914
	v_mul_f32_e32 v157, v20, v157                              // 00000001996C: 0B3B3B14
	v_mul_f32_e32 v158, v20, v158                              // 000000019970: 0B3D3D14
	v_mul_f32_e32 v159, v20, v159                              // 000000019974: 0B3F3F14
	v_mul_f32_dpp v144, v248, v144 quad_perm:[0,0,0,0] row_mask:0xf bank_mask:0xf// 000000019978: 0B2120FA FF0000F8
	v_mul_f32_dpp v145, v248, v145 quad_perm:[1,1,1,1] row_mask:0xf bank_mask:0xf// 000000019980: 0B2322FA FF0055F8
	v_mul_f32_dpp v146, v248, v146 quad_perm:[2,2,2,2] row_mask:0xf bank_mask:0xf// 000000019988: 0B2524FA FF00AAF8
	v_mul_f32_dpp v147, v248, v147 quad_perm:[3,3,3,3] row_mask:0xf bank_mask:0xf// 000000019990: 0B2726FA FF00FFF8
	v_mul_f32_dpp v148, v249, v148 quad_perm:[0,0,0,0] row_mask:0xf bank_mask:0xf// 000000019998: 0B2928FA FF0000F9
	v_mul_f32_dpp v149, v249, v149 quad_perm:[1,1,1,1] row_mask:0xf bank_mask:0xf// 0000000199A0: 0B2B2AFA FF0055F9
	v_mul_f32_dpp v150, v249, v150 quad_perm:[2,2,2,2] row_mask:0xf bank_mask:0xf// 0000000199A8: 0B2D2CFA FF00AAF9
	v_mul_f32_dpp v151, v249, v151 quad_perm:[3,3,3,3] row_mask:0xf bank_mask:0xf// 0000000199B0: 0B2F2EFA FF00FFF9
	v_mul_f32_dpp v152, v250, v152 quad_perm:[0,0,0,0] row_mask:0xf bank_mask:0xf// 0000000199B8: 0B3130FA FF0000FA
	v_mul_f32_dpp v153, v250, v153 quad_perm:[1,1,1,1] row_mask:0xf bank_mask:0xf// 0000000199C0: 0B3332FA FF0055FA
	v_mul_f32_dpp v154, v250, v154 quad_perm:[2,2,2,2] row_mask:0xf bank_mask:0xf// 0000000199C8: 0B3534FA FF00AAFA
	v_mul_f32_dpp v155, v250, v155 quad_perm:[3,3,3,3] row_mask:0xf bank_mask:0xf// 0000000199D0: 0B3736FA FF00FFFA
	v_mul_f32_dpp v156, v251, v156 quad_perm:[0,0,0,0] row_mask:0xf bank_mask:0xf// 0000000199D8: 0B3938FA FF0000FB
	v_mul_f32_dpp v157, v251, v157 quad_perm:[1,1,1,1] row_mask:0xf bank_mask:0xf// 0000000199E0: 0B3B3AFA FF0055FB
	v_mul_f32_dpp v158, v251, v158 quad_perm:[2,2,2,2] row_mask:0xf bank_mask:0xf// 0000000199E8: 0B3D3CFA FF00AAFB
	v_mul_f32_dpp v159, v251, v159 quad_perm:[3,3,3,3] row_mask:0xf bank_mask:0xf// 0000000199F0: 0B3F3EFA FF00FFFB
	s_and_b32 s60, s72, 0xff                                   // 0000000199F8: 863CFF48 000000FF
	v_mov_b32_e32 v65, s60                                     // 000000019A00: 7E82023C
	v_lshrrev_b32_e32 v240, 4, v0                              // 000000019A04: 21E00084
	v_mul_i32_i24_e32 v240, 4, v240                            // 000000019A08: 0DE1E084
	s_mul_i32 s60, s7, 16                                      // 000000019A0C: 923C9007
	v_add_u32_e32 v240, s60, v240                              // 000000019A10: 69E1E03C
	v_add_u32_e32 v241, 1, v240                                // 000000019A14: 69E3E081
	v_add_u32_e32 v242, 2, v240                                // 000000019A18: 69E5E082
	v_add_u32_e32 v243, 3, v240                                // 000000019A1C: 69E7E083
	v_mov_b32_e32 v64, 0xff800000                              // 000000019A20: 7E8002FF FF800000
	v_cmp_lt_u32_e64 s[40:41], v240, v65                       // 000000019A28: D0C90028 000283F0
	v_add_u32_e32 v240, 64, v240                               // 000000019A30: 69E1E0C0
	s_nop 0                                                    // 000000019A34: BF800000
	v_cndmask_b32_e64 v144, v64, v144, s[40:41]                // 000000019A38: D1000090 00A32140
	v_cmp_lt_u32_e64 s[40:41], v241, v65                       // 000000019A40: D0C90028 000283F1
	v_add_u32_e32 v241, 64, v241                               // 000000019A48: 69E3E2C0
	s_nop 0                                                    // 000000019A4C: BF800000
	v_cndmask_b32_e64 v145, v64, v145, s[40:41]                // 000000019A50: D1000091 00A32340
	v_cmp_lt_u32_e64 s[40:41], v242, v65                       // 000000019A58: D0C90028 000283F2
	v_add_u32_e32 v242, 64, v242                               // 000000019A60: 69E5E4C0
	s_nop 0                                                    // 000000019A64: BF800000
	v_cndmask_b32_e64 v146, v64, v146, s[40:41]                // 000000019A68: D1000092 00A32540
	v_cmp_lt_u32_e64 s[40:41], v243, v65                       // 000000019A70: D0C90028 000283F3
	v_add_u32_e32 v243, 64, v243                               // 000000019A78: 69E7E6C0
	s_nop 0                                                    // 000000019A7C: BF800000
	v_cndmask_b32_e64 v147, v64, v147, s[40:41]                // 000000019A80: D1000093 00A32740
	v_cmp_lt_u32_e64 s[40:41], v240, v65                       // 000000019A88: D0C90028 000283F0
	v_add_u32_e32 v240, 64, v240                               // 000000019A90: 69E1E0C0
	s_nop 0                                                    // 000000019A94: BF800000
	v_cndmask_b32_e64 v148, v64, v148, s[40:41]                // 000000019A98: D1000094 00A32940
	v_cmp_lt_u32_e64 s[40:41], v241, v65                       // 000000019AA0: D0C90028 000283F1
	v_add_u32_e32 v241, 64, v241                               // 000000019AA8: 69E3E2C0
	s_nop 0                                                    // 000000019AAC: BF800000
	v_cndmask_b32_e64 v149, v64, v149, s[40:41]                // 000000019AB0: D1000095 00A32B40
	v_cmp_lt_u32_e64 s[40:41], v242, v65                       // 000000019AB8: D0C90028 000283F2
	v_add_u32_e32 v242, 64, v242                               // 000000019AC0: 69E5E4C0
	s_nop 0                                                    // 000000019AC4: BF800000
	v_cndmask_b32_e64 v150, v64, v150, s[40:41]                // 000000019AC8: D1000096 00A32D40
	v_cmp_lt_u32_e64 s[40:41], v243, v65                       // 000000019AD0: D0C90028 000283F3
	v_add_u32_e32 v243, 64, v243                               // 000000019AD8: 69E7E6C0
	s_nop 0                                                    // 000000019ADC: BF800000
	v_cndmask_b32_e64 v151, v64, v151, s[40:41]                // 000000019AE0: D1000097 00A32F40
	v_cmp_lt_u32_e64 s[40:41], v240, v65                       // 000000019AE8: D0C90028 000283F0
	v_add_u32_e32 v240, 64, v240                               // 000000019AF0: 69E1E0C0
	s_nop 0                                                    // 000000019AF4: BF800000
	v_cndmask_b32_e64 v152, v64, v152, s[40:41]                // 000000019AF8: D1000098 00A33140
	v_cmp_lt_u32_e64 s[40:41], v241, v65                       // 000000019B00: D0C90028 000283F1
	v_add_u32_e32 v241, 64, v241                               // 000000019B08: 69E3E2C0
	s_nop 0                                                    // 000000019B0C: BF800000
	v_cndmask_b32_e64 v153, v64, v153, s[40:41]                // 000000019B10: D1000099 00A33340
	v_cmp_lt_u32_e64 s[40:41], v242, v65                       // 000000019B18: D0C90028 000283F2
	v_add_u32_e32 v242, 64, v242                               // 000000019B20: 69E5E4C0
	s_nop 0                                                    // 000000019B24: BF800000
	v_cndmask_b32_e64 v154, v64, v154, s[40:41]                // 000000019B28: D100009A 00A33540
	v_cmp_lt_u32_e64 s[40:41], v243, v65                       // 000000019B30: D0C90028 000283F3
	v_add_u32_e32 v243, 64, v243                               // 000000019B38: 69E7E6C0
	s_nop 0                                                    // 000000019B3C: BF800000
	v_cndmask_b32_e64 v155, v64, v155, s[40:41]                // 000000019B40: D100009B 00A33740
	v_cmp_lt_u32_e64 s[40:41], v240, v65                       // 000000019B48: D0C90028 000283F0
	v_add_u32_e32 v240, 64, v240                               // 000000019B50: 69E1E0C0
	s_nop 0                                                    // 000000019B54: BF800000
	v_cndmask_b32_e64 v156, v64, v156, s[40:41]                // 000000019B58: D100009C 00A33940
	v_cmp_lt_u32_e64 s[40:41], v241, v65                       // 000000019B60: D0C90028 000283F1
	v_add_u32_e32 v241, 64, v241                               // 000000019B68: 69E3E2C0
	s_nop 0                                                    // 000000019B6C: BF800000
	v_cndmask_b32_e64 v157, v64, v157, s[40:41]                // 000000019B70: D100009D 00A33B40
	v_cmp_lt_u32_e64 s[40:41], v242, v65                       // 000000019B78: D0C90028 000283F2
	v_add_u32_e32 v242, 64, v242                               // 000000019B80: 69E5E4C0
	s_nop 0                                                    // 000000019B84: BF800000
	v_cndmask_b32_e64 v158, v64, v158, s[40:41]                // 000000019B88: D100009E 00A33D40
	v_cmp_lt_u32_e64 s[40:41], v243, v65                       // 000000019B90: D0C90028 000283F3
	v_add_u32_e32 v243, 64, v243                               // 000000019B98: 69E7E6C0
	s_nop 0                                                    // 000000019B9C: BF800000
	v_cndmask_b32_e64 v159, v64, v159, s[40:41]                // 000000019BA0: D100009F 00A33F40
	v_mov_b32_e32 v48, v144                                    // 000000019BA8: 7E600390
	v_max3_f32 v48, v144, v145, v48                            // 000000019BAC: D1D30030 04C32390
	v_max3_f32 v48, v146, v147, v48                            // 000000019BB4: D1D30030 04C32792
	v_max3_f32 v48, v148, v149, v48                            // 000000019BBC: D1D30030 04C32B94
	v_max3_f32 v48, v150, v151, v48                            // 000000019BC4: D1D30030 04C32F96
	v_max3_f32 v48, v152, v153, v48                            // 000000019BCC: D1D30030 04C33398
	v_max3_f32 v48, v154, v155, v48                            // 000000019BD4: D1D30030 04C3379A
	v_max3_f32 v48, v156, v157, v48                            // 000000019BDC: D1D30030 04C33B9C
	v_max3_f32 v48, v158, v159, v48                            // 000000019BE4: D1D30030 04C33F9E
	ds_write_b32 v8, v48 offset:16896                          // 000000019BEC: D81A4200 00003008
	v_mul_f32_e32 v224, v51, v224                              // 000000019BF4: 0BC1C133
	v_mul_f32_e32 v225, v51, v225                              // 000000019BF8: 0BC3C333
	v_mul_f32_e32 v226, v51, v226                              // 000000019BFC: 0BC5C533
	v_mul_f32_e32 v227, v51, v227                              // 000000019C00: 0BC7C733
	v_mul_f32_e32 v228, v51, v228                              // 000000019C04: 0BC9C933
	v_mul_f32_e32 v229, v51, v229                              // 000000019C08: 0BCBCB33
	v_mul_f32_e32 v230, v51, v230                              // 000000019C0C: 0BCDCD33
	v_mul_f32_e32 v231, v51, v231                              // 000000019C10: 0BCFCF33
	s_waitcnt lgkmcnt(0)                                       // 000000019C14: BF8CC07F
	s_barrier                                                  // 000000019C18: BF8A0000
	ds_read_b32 v64, v7 offset:16896                           // 000000019C1C: D86C4200 40000007
	ds_read_b32 v65, v7 offset:16960                           // 000000019C24: D86C4240 41000007
	ds_read_b32 v66, v7 offset:17024                           // 000000019C2C: D86C4280 42000007
	ds_read_b32 v67, v7 offset:17088                           // 000000019C34: D86C42C0 43000007
	ds_read_b32 v68, v7 offset:17152                           // 000000019C3C: D86C4300 44000007
	ds_read_b32 v69, v7 offset:17216                           // 000000019C44: D86C4340 45000007
	ds_read_b32 v70, v7 offset:17280                           // 000000019C4C: D86C4380 46000007
	ds_read_b32 v71, v7 offset:17344                           // 000000019C54: D86C43C0 47000007
	ds_read_b32 v72, v7 offset:17408                           // 000000019C5C: D86C4400 48000007
	ds_read_b32 v73, v7 offset:17472                           // 000000019C64: D86C4440 49000007
	ds_read_b32 v74, v7 offset:17536                           // 000000019C6C: D86C4480 4A000007
	ds_read_b32 v75, v7 offset:17600                           // 000000019C74: D86C44C0 4B000007
	ds_read_b32 v76, v7 offset:17664                           // 000000019C7C: D86C4500 4C000007
	ds_read_b32 v77, v7 offset:17728                           // 000000019C84: D86C4540 4D000007
	ds_read_b32 v78, v7 offset:17792                           // 000000019C8C: D86C4580 4E000007
	ds_read_b32 v79, v7 offset:17856                           // 000000019C94: D86C45C0 4F000007
	v_cvt_f32_i32_e32 v192, v192                               // 000000019C9C: 7F800BC0
	v_cvt_f32_i32_e32 v193, v193                               // 000000019CA0: 7F820BC1
	v_cvt_f32_i32_e32 v194, v194                               // 000000019CA4: 7F840BC2
	v_cvt_f32_i32_e32 v195, v195                               // 000000019CA8: 7F860BC3
	v_cvt_f32_i32_e32 v196, v196                               // 000000019CAC: 7F880BC4
	v_cvt_f32_i32_e32 v197, v197                               // 000000019CB0: 7F8A0BC5
	v_cvt_f32_i32_e32 v198, v198                               // 000000019CB4: 7F8C0BC6
	v_cvt_f32_i32_e32 v199, v199                               // 000000019CB8: 7F8E0BC7
	v_mul_f32_e32 v192, v46, v192                              // 000000019CBC: 0B81812E
	v_mul_f32_e32 v193, v46, v193                              // 000000019CC0: 0B83832E
	v_mul_f32_e32 v194, v46, v194                              // 000000019CC4: 0B85852E
	v_mul_f32_e32 v195, v46, v195                              // 000000019CC8: 0B87872E
	v_mul_f32_e32 v196, v46, v196                              // 000000019CCC: 0B89892E
	v_mul_f32_e32 v197, v46, v197                              // 000000019CD0: 0B8B8B2E
	v_mul_f32_e32 v198, v46, v198                              // 000000019CD4: 0B8D8D2E
	v_mul_f32_e32 v199, v46, v199                              // 000000019CD8: 0B8F8F2E
	s_waitcnt lgkmcnt(0)                                       // 000000019CDC: BF8CC07F
	v_max3_f32 v48, v64, v65, v48                              // 000000019CE0: D1D30030 04C28340
	v_max3_f32 v48, v66, v67, v48                              // 000000019CE8: D1D30030 04C28742
	v_max3_f32 v48, v68, v69, v48                              // 000000019CF0: D1D30030 04C28B44
	v_max3_f32 v48, v70, v71, v48                              // 000000019CF8: D1D30030 04C28F46
	v_max3_f32 v48, v72, v73, v48                              // 000000019D00: D1D30030 04C29348
	v_max3_f32 v48, v74, v75, v48                              // 000000019D08: D1D30030 04C2974A
	v_max3_f32 v48, v76, v77, v48                              // 000000019D10: D1D30030 04C29B4C
	v_max3_f32 v48, v78, v79, v48                              // 000000019D18: D1D30030 04C29F4E
	v_mov_b32_e32 v64, 0xff800000                              // 000000019D20: 7E8002FF FF800000
	v_cmp_eq_u32_e64 s[40:41], v64, v13                        // 000000019D28: D0CA0028 00021B40
	s_nop 1                                                    // 000000019D30: BF800001
	v_max_f32_e32 v15, v48, v13                                // 000000019D34: 161E1B30
	v_mul_f32_e32 v53, s64, v15                                // 000000019D38: 0A6A1E40
	v_fma_f32 v144, v144, s64, -v53                            // 000000019D3C: D1CB0090 84D48190
	v_fma_f32 v145, v145, s64, -v53                            // 000000019D44: D1CB0091 84D48191
	v_fma_f32 v146, v146, s64, -v53                            // 000000019D4C: D1CB0092 84D48192
	v_fma_f32 v147, v147, s64, -v53                            // 000000019D54: D1CB0093 84D48193
	v_fma_f32 v148, v148, s64, -v53                            // 000000019D5C: D1CB0094 84D48194
	v_fma_f32 v149, v149, s64, -v53                            // 000000019D64: D1CB0095 84D48195
	v_fma_f32 v150, v150, s64, -v53                            // 000000019D6C: D1CB0096 84D48196
	v_fma_f32 v151, v151, s64, -v53                            // 000000019D74: D1CB0097 84D48197
	v_fma_f32 v152, v152, s64, -v53                            // 000000019D7C: D1CB0098 84D48198
	v_fma_f32 v153, v153, s64, -v53                            // 000000019D84: D1CB0099 84D48199
	v_fma_f32 v154, v154, s64, -v53                            // 000000019D8C: D1CB009A 84D4819A
	v_fma_f32 v155, v155, s64, -v53                            // 000000019D94: D1CB009B 84D4819B
	v_fma_f32 v156, v156, s64, -v53                            // 000000019D9C: D1CB009C 84D4819C
	v_fma_f32 v157, v157, s64, -v53                            // 000000019DA4: D1CB009D 84D4819D
	v_fma_f32 v158, v158, s64, -v53                            // 000000019DAC: D1CB009E 84D4819E
	v_fma_f32 v159, v159, s64, -v53                            // 000000019DB4: D1CB009F 84D4819F
	v_exp_f32_e32 v144, v144                                   // 000000019DBC: 7F204190
	v_exp_f32_e32 v145, v145                                   // 000000019DC0: 7F224191
	v_exp_f32_e32 v146, v146                                   // 000000019DC4: 7F244192
	v_exp_f32_e32 v147, v147                                   // 000000019DC8: 7F264193
	v_exp_f32_e32 v148, v148                                   // 000000019DCC: 7F284194
	v_exp_f32_e32 v149, v149                                   // 000000019DD0: 7F2A4195
	v_exp_f32_e32 v150, v150                                   // 000000019DD4: 7F2C4196
	v_exp_f32_e32 v151, v151                                   // 000000019DD8: 7F2E4197
	v_exp_f32_e32 v152, v152                                   // 000000019DDC: 7F304198
	v_exp_f32_e32 v153, v153                                   // 000000019DE0: 7F324199
	v_exp_f32_e32 v154, v154                                   // 000000019DE4: 7F34419A
	v_exp_f32_e32 v155, v155                                   // 000000019DE8: 7F36419B
	v_exp_f32_e32 v156, v156                                   // 000000019DEC: 7F38419C
	v_exp_f32_e32 v157, v157                                   // 000000019DF0: 7F3A419D
	v_exp_f32_e32 v158, v158                                   // 000000019DF4: 7F3C419E
	v_exp_f32_e32 v159, v159                                   // 000000019DF8: 7F3E419F
	v_mul_f32_dpp v240, v252, v144 quad_perm:[0,0,0,0] row_mask:0xf bank_mask:0xf// 000000019DFC: 0BE120FA FF0000FC
	v_mul_f32_dpp v241, v252, v145 quad_perm:[1,1,1,1] row_mask:0xf bank_mask:0xf// 000000019E04: 0BE322FA FF0055FC
	v_mul_f32_dpp v242, v252, v146 quad_perm:[2,2,2,2] row_mask:0xf bank_mask:0xf// 000000019E0C: 0BE524FA FF00AAFC
	v_mul_f32_dpp v243, v252, v147 quad_perm:[3,3,3,3] row_mask:0xf bank_mask:0xf// 000000019E14: 0BE726FA FF00FFFC
	v_mul_f32_dpp v244, v253, v148 quad_perm:[0,0,0,0] row_mask:0xf bank_mask:0xf// 000000019E1C: 0BE928FA FF0000FD
	v_mul_f32_dpp v245, v253, v149 quad_perm:[1,1,1,1] row_mask:0xf bank_mask:0xf// 000000019E24: 0BEB2AFA FF0055FD
	v_mul_f32_dpp v246, v253, v150 quad_perm:[2,2,2,2] row_mask:0xf bank_mask:0xf// 000000019E2C: 0BED2CFA FF00AAFD
	v_mul_f32_dpp v247, v253, v151 quad_perm:[3,3,3,3] row_mask:0xf bank_mask:0xf// 000000019E34: 0BEF2EFA FF00FFFD
	v_mul_f32_dpp v248, v254, v152 quad_perm:[0,0,0,0] row_mask:0xf bank_mask:0xf// 000000019E3C: 0BF130FA FF0000FE
	v_mul_f32_dpp v249, v254, v153 quad_perm:[1,1,1,1] row_mask:0xf bank_mask:0xf// 000000019E44: 0BF332FA FF0055FE
	v_mul_f32_dpp v250, v254, v154 quad_perm:[2,2,2,2] row_mask:0xf bank_mask:0xf// 000000019E4C: 0BF534FA FF00AAFE
	v_mul_f32_dpp v251, v254, v155 quad_perm:[3,3,3,3] row_mask:0xf bank_mask:0xf// 000000019E54: 0BF736FA FF00FFFE
	v_mul_f32_dpp v252, v255, v156 quad_perm:[0,0,0,0] row_mask:0xf bank_mask:0xf// 000000019E5C: 0BF938FA FF0000FF
	v_mul_f32_dpp v253, v255, v157 quad_perm:[1,1,1,1] row_mask:0xf bank_mask:0xf// 000000019E64: 0BFB3AFA FF0055FF
	v_mul_f32_dpp v254, v255, v158 quad_perm:[2,2,2,2] row_mask:0xf bank_mask:0xf// 000000019E6C: 0BFD3CFA FF00AAFF
	v_mul_f32_dpp v255, v255, v159 quad_perm:[3,3,3,3] row_mask:0xf bank_mask:0xf// 000000019E74: 0BFF3EFA FF00FFFF
	v_mov_b32_e32 v48, 0x358637bd                              // 000000019E7C: 7E6002FF 358637BD
	v_max3_f32 v48, |v240|, |v241|, v48                        // 000000019E84: D1D30330 04C3E3F0
	v_max3_f32 v48, |v242|, |v243|, v48                        // 000000019E8C: D1D30330 04C3E7F2
	v_max3_f32 v48, |v244|, |v245|, v48                        // 000000019E94: D1D30330 04C3EBF4
	v_max3_f32 v48, |v246|, |v247|, v48                        // 000000019E9C: D1D30330 04C3EFF6
	v_max3_f32 v48, |v248|, |v249|, v48                        // 000000019EA4: D1D30330 04C3F3F8
	v_max3_f32 v48, |v250|, |v251|, v48                        // 000000019EAC: D1D30330 04C3F7FA
	v_max3_f32 v48, |v252|, |v253|, v48                        // 000000019EB4: D1D30330 04C3FBFC
	v_max3_f32 v48, |v254|, |v255|, v48                        // 000000019EBC: D1D30330 04C3FFFE
	ds_write_b32 v8, v48 offset:20992                          // 000000019EC4: D81A5200 00003008
	v_sub_f32_e32 v51, v13, v15                                // 000000019ECC: 04661F0D
	v_cndmask_b32_e64 v51, v51, 0, s[40:41]                    // 000000019ED0: D1000033 00A10133
	v_mov_b32_e32 v13, v15                                     // 000000019ED8: 7E1A030F
	v_mul_f32_e32 v51, s64, v51                                // 000000019EDC: 0A666640
	v_exp_f32_e32 v51, v51                                     // 000000019EE0: 7E664133
	s_waitcnt lgkmcnt(0)                                       // 000000019EE4: BF8CC07F
	s_barrier                                                  // 000000019EE8: BF8A0000
	ds_read_b32 v64, v7 offset:20992                           // 000000019EEC: D86C5200 40000007
	ds_read_b32 v65, v7 offset:21056                           // 000000019EF4: D86C5240 41000007
	ds_read_b32 v66, v7 offset:21120                           // 000000019EFC: D86C5280 42000007
	ds_read_b32 v67, v7 offset:21184                           // 000000019F04: D86C52C0 43000007
	ds_read_b32 v68, v7 offset:21248                           // 000000019F0C: D86C5300 44000007
	ds_read_b32 v69, v7 offset:21312                           // 000000019F14: D86C5340 45000007
	ds_read_b32 v70, v7 offset:21376                           // 000000019F1C: D86C5380 46000007
	ds_read_b32 v71, v7 offset:21440                           // 000000019F24: D86C53C0 47000007
	ds_read_b32 v72, v7 offset:21504                           // 000000019F2C: D86C5400 48000007
	ds_read_b32 v73, v7 offset:21568                           // 000000019F34: D86C5440 49000007
	ds_read_b32 v74, v7 offset:21632                           // 000000019F3C: D86C5480 4A000007
	ds_read_b32 v75, v7 offset:21696                           // 000000019F44: D86C54C0 4B000007
	ds_read_b32 v76, v7 offset:21760                           // 000000019F4C: D86C5500 4C000007
	ds_read_b32 v77, v7 offset:21824                           // 000000019F54: D86C5540 4D000007
	ds_read_b32 v78, v7 offset:21888                           // 000000019F5C: D86C5580 4E000007
	ds_read_b32 v79, v7 offset:21952                           // 000000019F64: D86C55C0 4F000007
	v_mul_f32_e32 v40, v51, v40                                // 000000019F6C: 0A505133
	v_mov_b32_e32 v15, v144                                    // 000000019F70: 7E1E0390
	v_add_f32_e32 v15, v145, v15                               // 000000019F74: 021E1F91
	v_add_f32_e32 v15, v146, v15                               // 000000019F78: 021E1F92
	v_add_f32_e32 v15, v147, v15                               // 000000019F7C: 021E1F93
	v_add_f32_e32 v15, v148, v15                               // 000000019F80: 021E1F94
	v_add_f32_e32 v15, v149, v15                               // 000000019F84: 021E1F95
	v_add_f32_e32 v15, v150, v15                               // 000000019F88: 021E1F96
	v_add_f32_e32 v15, v151, v15                               // 000000019F8C: 021E1F97
	v_add_f32_e32 v15, v152, v15                               // 000000019F90: 021E1F98
	v_add_f32_e32 v15, v153, v15                               // 000000019F94: 021E1F99
	v_add_f32_e32 v15, v154, v15                               // 000000019F98: 021E1F9A
	v_add_f32_e32 v15, v155, v15                               // 000000019F9C: 021E1F9B
	v_add_f32_e32 v15, v156, v15                               // 000000019FA0: 021E1F9C
	v_add_f32_e32 v15, v157, v15                               // 000000019FA4: 021E1F9D
	v_add_f32_e32 v15, v158, v15                               // 000000019FA8: 021E1F9E
	v_add_f32_e32 v15, v159, v15                               // 000000019FAC: 021E1F9F
	v_add_f32_e32 v40, v15, v40                                // 000000019FB0: 0250510F
	s_waitcnt lgkmcnt(0)                                       // 000000019FB4: BF8CC07F
	v_max3_f32 v48, |v64|, |v65|, v48                          // 000000019FB8: D1D30330 04C28340
	v_max3_f32 v48, |v66|, |v67|, v48                          // 000000019FC0: D1D30330 04C28742
	v_max3_f32 v48, |v68|, |v69|, v48                          // 000000019FC8: D1D30330 04C28B44
	v_max3_f32 v48, |v70|, |v71|, v48                          // 000000019FD0: D1D30330 04C28F46
	v_max3_f32 v48, |v72|, |v73|, v48                          // 000000019FD8: D1D30330 04C29348
	v_max3_f32 v48, |v74|, |v75|, v48                          // 000000019FE0: D1D30330 04C2974A
	v_max3_f32 v48, |v76|, |v77|, v48                          // 000000019FE8: D1D30330 04C29B4C
	v_max3_f32 v48, |v78|, |v79|, v48                          // 000000019FF0: D1D30330 04C29F4E
	s_nop 2                                                    // 000000019FF8: BF800002
	v_rcp_f32_e32 v48, v48                                     // 000000019FFC: 7E604530
	s_nop 1                                                    // 00000001A000: BF800001
	v_mul_f32_e32 v48, 0x42fe0000, v48                         // 00000001A004: 0A6060FF 42FE0000
	v_mul_f32_e32 v144, v48, v240                              // 00000001A00C: 0B21E130
	v_mul_f32_e32 v145, v48, v241                              // 00000001A010: 0B23E330
	v_mul_f32_e32 v146, v48, v242                              // 00000001A014: 0B25E530
	v_mul_f32_e32 v147, v48, v243                              // 00000001A018: 0B27E730
	v_mul_f32_e32 v148, v48, v244                              // 00000001A01C: 0B29E930
	v_mul_f32_e32 v149, v48, v245                              // 00000001A020: 0B2BEB30
	v_mul_f32_e32 v150, v48, v246                              // 00000001A024: 0B2DED30
	v_mul_f32_e32 v151, v48, v247                              // 00000001A028: 0B2FEF30
	v_mul_f32_e32 v152, v48, v248                              // 00000001A02C: 0B31F130
	v_mul_f32_e32 v153, v48, v249                              // 00000001A030: 0B33F330
	v_mul_f32_e32 v154, v48, v250                              // 00000001A034: 0B35F530
	v_mul_f32_e32 v155, v48, v251                              // 00000001A038: 0B37F730
	v_mul_f32_e32 v156, v48, v252                              // 00000001A03C: 0B39F930
	v_mul_f32_e32 v157, v48, v253                              // 00000001A040: 0B3BFB30
	v_mul_f32_e32 v158, v48, v254                              // 00000001A044: 0B3DFD30
	v_mul_f32_e32 v159, v48, v255                              // 00000001A048: 0B3FFF30
	v_cvt_i32_f32_e32 v144, v144                               // 00000001A04C: 7F201190
	v_cvt_i32_f32_e32 v145, v145                               // 00000001A050: 7F221191
	v_cvt_i32_f32_e32 v146, v146                               // 00000001A054: 7F241192
	v_cvt_i32_f32_e32 v147, v147                               // 00000001A058: 7F261193
	v_cvt_i32_f32_e32 v148, v148                               // 00000001A05C: 7F281194
	v_cvt_i32_f32_e32 v149, v149                               // 00000001A060: 7F2A1195
	v_cvt_i32_f32_e32 v150, v150                               // 00000001A064: 7F2C1196
	v_cvt_i32_f32_e32 v151, v151                               // 00000001A068: 7F2E1197
	v_cvt_i32_f32_e32 v152, v152                               // 00000001A06C: 7F301198
	v_cvt_i32_f32_e32 v153, v153                               // 00000001A070: 7F321199
	v_cvt_i32_f32_e32 v154, v154                               // 00000001A074: 7F34119A
	v_cvt_i32_f32_e32 v155, v155                               // 00000001A078: 7F36119B
	v_cvt_i32_f32_e32 v156, v156                               // 00000001A07C: 7F38119C
	v_cvt_i32_f32_e32 v157, v157                               // 00000001A080: 7F3A119D
	v_cvt_i32_f32_e32 v158, v158                               // 00000001A084: 7F3C119E
	v_cvt_i32_f32_e32 v159, v159                               // 00000001A088: 7F3E119F
	v_perm_b32 v144, v145, v144, s53                           // 00000001A08C: D1ED0090 00D72191
	v_perm_b32 v144, v146, v144, s54                           // 00000001A094: D1ED0090 00DB2192
	v_perm_b32 v144, v147, v144, s55                           // 00000001A09C: D1ED0090 00DF2193
	v_perm_b32 v145, v149, v148, s53                           // 00000001A0A4: D1ED0091 00D72995
	v_perm_b32 v145, v150, v145, s54                           // 00000001A0AC: D1ED0091 00DB2396
	v_perm_b32 v145, v151, v145, s55                           // 00000001A0B4: D1ED0091 00DF2397
	v_perm_b32 v146, v153, v152, s53                           // 00000001A0BC: D1ED0092 00D73199
	v_perm_b32 v146, v154, v146, s54                           // 00000001A0C4: D1ED0092 00DB259A
	v_perm_b32 v146, v155, v146, s55                           // 00000001A0CC: D1ED0092 00DF259B
	v_perm_b32 v147, v157, v156, s53                           // 00000001A0D4: D1ED0093 00D7399D
	v_perm_b32 v147, v158, v147, s54                           // 00000001A0DC: D1ED0093 00DB279E
	v_perm_b32 v147, v159, v147, s55                           // 00000001A0E4: D1ED0093 00DF279F
	ds_write_b32 v10, v144 offset:33280                        // 00000001A0EC: D81A8200 0000900A
	ds_write_b32 v10, v145 offset:34304                        // 00000001A0F4: D81A8600 0000910A
	ds_write_b32 v10, v146 offset:35328                        // 00000001A0FC: D81A8A00 0000920A
	ds_write_b32 v10, v147 offset:36352                        // 00000001A104: D81A8E00 0000930A
	v_add_f32_e32 v224, v224, v192                             // 00000001A10C: 03C181E0
	v_add_f32_e32 v225, v225, v193                             // 00000001A110: 03C383E1
	v_add_f32_e32 v226, v226, v194                             // 00000001A114: 03C585E2
	v_add_f32_e32 v227, v227, v195                             // 00000001A118: 03C787E3
	v_add_f32_e32 v228, v228, v196                             // 00000001A11C: 03C989E4
	v_add_f32_e32 v229, v229, v197                             // 00000001A120: 03CB8BE5
	v_add_f32_e32 v230, v230, v198                             // 00000001A124: 03CD8DE6
	v_add_f32_e32 v231, v231, v199                             // 00000001A128: 03CF8FE7
	v_rcp_f32_e32 v46, v48                                     // 00000001A12C: 7E5C4530
	s_waitcnt lgkmcnt(0)                                       // 00000001A130: BF8CC07F
	s_barrier                                                  // 00000001A134: BF8A0000
	ds_read_b64 v[144:145], v9 offset:33280                    // 00000001A138: D8EC8200 90000009
	ds_read_b64 v[146:147], v9 offset:33408                    // 00000001A140: D8EC8280 92000009
	ds_read_b64 v[148:149], v9 offset:34304                    // 00000001A148: D8EC8600 94000009
	ds_read_b64 v[150:151], v9 offset:34432                    // 00000001A150: D8EC8680 96000009
	ds_read_b64 v[152:153], v9 offset:35328                    // 00000001A158: D8EC8A00 98000009
	ds_read_b64 v[154:155], v9 offset:35456                    // 00000001A160: D8EC8A80 9A000009
	ds_read_b64 v[156:157], v9 offset:36352                    // 00000001A168: D8EC8E00 9C000009
	ds_read_b64 v[158:159], v9 offset:36480                    // 00000001A170: D8EC8E80 9E000009
	s_waitcnt vmcnt(0)                                         // 00000001A178: BF8C0F70
	s_barrier                                                  // 00000001A17C: BF8A0000
	v_mfma_i32_16x16x32_i8 v[176:179], a[96:97], v[112:113], 0 // 00000001A180: D3D700B0 0A02E160
	v_mfma_i32_16x16x32_i8 v[176:179], a[98:99], v[114:115], v[176:179]// 00000001A188: D3D700B0 0EC2E562
	v_mfma_i32_16x16x32_i8 v[176:179], a[100:101], v[116:117], v[176:179]// 00000001A190: D3D700B0 0EC2E964
	v_mfma_i32_16x16x32_i8 v[176:179], a[102:103], v[118:119], v[176:179]// 00000001A198: D3D700B0 0EC2ED66
	v_mfma_i32_16x16x32_i8 v[176:179], a[104:105], v[120:121], v[176:179]// 00000001A1A0: D3D700B0 0EC2F168
	v_mfma_i32_16x16x32_i8 v[176:179], a[106:107], v[122:123], v[176:179]// 00000001A1A8: D3D700B0 0EC2F56A
	v_mfma_i32_16x16x32_i8 v[176:179], a[108:109], v[124:125], v[176:179]// 00000001A1B0: D3D700B0 0EC2F96C
	v_mfma_i32_16x16x32_i8 v[176:179], a[110:111], v[126:127], v[176:179]// 00000001A1B8: D3D700B0 0EC2FD6E
	v_mfma_i32_16x16x32_i8 v[180:183], a[112:113], v[112:113], 0// 00000001A1C0: D3D700B4 0A02E170
	v_mfma_i32_16x16x32_i8 v[180:183], a[114:115], v[114:115], v[180:183]// 00000001A1C8: D3D700B4 0ED2E572
	v_mfma_i32_16x16x32_i8 v[180:183], a[116:117], v[116:117], v[180:183]// 00000001A1D0: D3D700B4 0ED2E974
	v_mfma_i32_16x16x32_i8 v[180:183], a[118:119], v[118:119], v[180:183]// 00000001A1D8: D3D700B4 0ED2ED76
	v_mfma_i32_16x16x32_i8 v[180:183], a[120:121], v[120:121], v[180:183]// 00000001A1E0: D3D700B4 0ED2F178
	v_mfma_i32_16x16x32_i8 v[180:183], a[122:123], v[122:123], v[180:183]// 00000001A1E8: D3D700B4 0ED2F57A
	v_mfma_i32_16x16x32_i8 v[180:183], a[124:125], v[124:125], v[180:183]// 00000001A1F0: D3D700B4 0ED2F97C
	v_mfma_i32_16x16x32_i8 v[180:183], a[126:127], v[126:127], v[180:183]// 00000001A1F8: D3D700B4 0ED2FD7E
	v_mfma_i32_16x16x32_i8 v[184:187], a[96:97], v[128:129], 0 // 00000001A200: D3D700B8 0A030160
	v_mfma_i32_16x16x32_i8 v[184:187], a[98:99], v[130:131], v[184:187]// 00000001A208: D3D700B8 0EE30562
	v_mfma_i32_16x16x32_i8 v[184:187], a[100:101], v[132:133], v[184:187]// 00000001A210: D3D700B8 0EE30964
	v_mfma_i32_16x16x32_i8 v[184:187], a[102:103], v[134:135], v[184:187]// 00000001A218: D3D700B8 0EE30D66
	v_mfma_i32_16x16x32_i8 v[184:187], a[104:105], v[136:137], v[184:187]// 00000001A220: D3D700B8 0EE31168
	v_mfma_i32_16x16x32_i8 v[184:187], a[106:107], v[138:139], v[184:187]// 00000001A228: D3D700B8 0EE3156A
	v_mfma_i32_16x16x32_i8 v[184:187], a[108:109], v[140:141], v[184:187]// 00000001A230: D3D700B8 0EE3196C
	v_mfma_i32_16x16x32_i8 v[184:187], a[110:111], v[142:143], v[184:187]// 00000001A238: D3D700B8 0EE31D6E
	v_mfma_i32_16x16x32_i8 v[188:191], a[112:113], v[128:129], 0// 00000001A240: D3D700BC 0A030170
	v_mfma_i32_16x16x32_i8 v[188:191], a[114:115], v[130:131], v[188:191]// 00000001A248: D3D700BC 0EF30572
	v_mfma_i32_16x16x32_i8 v[188:191], a[116:117], v[132:133], v[188:191]// 00000001A250: D3D700BC 0EF30974
	v_mfma_i32_16x16x32_i8 v[188:191], a[118:119], v[134:135], v[188:191]// 00000001A258: D3D700BC 0EF30D76
	v_mfma_i32_16x16x32_i8 v[188:191], a[120:121], v[136:137], v[188:191]// 00000001A260: D3D700BC 0EF31178
	v_mfma_i32_16x16x32_i8 v[188:191], a[122:123], v[138:139], v[188:191]// 00000001A268: D3D700BC 0EF3157A
	v_mfma_i32_16x16x32_i8 v[188:191], a[124:125], v[140:141], v[188:191]// 00000001A270: D3D700BC 0EF3197C
	v_mfma_i32_16x16x32_i8 v[188:191], a[126:127], v[142:143], v[188:191]// 00000001A278: D3D700BC 0EF31D7E
	v_mfma_i32_16x16x32_i8 v[192:195], a[96:97], v[144:145], 0 // 00000001A280: D3D700C0 0A032160
	v_mfma_i32_16x16x32_i8 v[192:195], a[98:99], v[146:147], v[192:195]// 00000001A288: D3D700C0 0F032562
	v_mfma_i32_16x16x32_i8 v[192:195], a[100:101], v[148:149], v[192:195]// 00000001A290: D3D700C0 0F032964
	v_mfma_i32_16x16x32_i8 v[192:195], a[102:103], v[150:151], v[192:195]// 00000001A298: D3D700C0 0F032D66
	v_mfma_i32_16x16x32_i8 v[192:195], a[104:105], v[152:153], v[192:195]// 00000001A2A0: D3D700C0 0F033168
	v_mfma_i32_16x16x32_i8 v[192:195], a[106:107], v[154:155], v[192:195]// 00000001A2A8: D3D700C0 0F03356A
	v_mfma_i32_16x16x32_i8 v[192:195], a[108:109], v[156:157], v[192:195]// 00000001A2B0: D3D700C0 0F03396C
	v_mfma_i32_16x16x32_i8 v[192:195], a[110:111], v[158:159], v[192:195]// 00000001A2B8: D3D700C0 0F033D6E
	v_mfma_i32_16x16x32_i8 v[196:199], a[112:113], v[144:145], 0// 00000001A2C0: D3D700C4 0A032170
	v_mfma_i32_16x16x32_i8 v[196:199], a[114:115], v[146:147], v[196:199]// 00000001A2C8: D3D700C4 0F132572
	v_mfma_i32_16x16x32_i8 v[196:199], a[116:117], v[148:149], v[196:199]// 00000001A2D0: D3D700C4 0F132974
	v_mfma_i32_16x16x32_i8 v[196:199], a[118:119], v[150:151], v[196:199]// 00000001A2D8: D3D700C4 0F132D76
	v_mfma_i32_16x16x32_i8 v[196:199], a[120:121], v[152:153], v[196:199]// 00000001A2E0: D3D700C4 0F133178
	v_mfma_i32_16x16x32_i8 v[196:199], a[122:123], v[154:155], v[196:199]// 00000001A2E8: D3D700C4 0F13357A
	v_mfma_i32_16x16x32_i8 v[196:199], a[124:125], v[156:157], v[196:199]// 00000001A2F0: D3D700C4 0F13397C
	v_mfma_i32_16x16x32_i8 v[196:199], a[126:127], v[158:159], v[196:199]// 00000001A2F8: D3D700C4 0F133D7E
	s_nop 4                                                    // 00000001A300: BF800004
	s_branch label_6042                                        // 00000001A304: BF820000

000000000001a308 <label_6042>:
	v_mul_f32_e32 v208, v49, v208                              // 00000001A308: 0BA1A131
	v_mul_f32_e32 v209, v49, v209                              // 00000001A30C: 0BA3A331
	v_mul_f32_e32 v210, v49, v210                              // 00000001A310: 0BA5A531
	v_mul_f32_e32 v211, v49, v211                              // 00000001A314: 0BA7A731
	v_mul_f32_e32 v212, v49, v212                              // 00000001A318: 0BA9A931
	v_mul_f32_e32 v213, v49, v213                              // 00000001A31C: 0BABAB31
	v_mul_f32_e32 v214, v49, v214                              // 00000001A320: 0BADAD31
	v_mul_f32_e32 v215, v49, v215                              // 00000001A324: 0BAFAF31
	v_cvt_f32_i32_e32 v176, v176                               // 00000001A328: 7F600BB0
	v_cvt_f32_i32_e32 v177, v177                               // 00000001A32C: 7F620BB1
	v_cvt_f32_i32_e32 v178, v178                               // 00000001A330: 7F640BB2
	v_cvt_f32_i32_e32 v179, v179                               // 00000001A334: 7F660BB3
	v_cvt_f32_i32_e32 v180, v180                               // 00000001A338: 7F680BB4
	v_cvt_f32_i32_e32 v181, v181                               // 00000001A33C: 7F6A0BB5
	v_cvt_f32_i32_e32 v182, v182                               // 00000001A340: 7F6C0BB6
	v_cvt_f32_i32_e32 v183, v183                               // 00000001A344: 7F6E0BB7
	v_mul_f32_e32 v176, v44, v176                              // 00000001A348: 0B61612C
	v_mul_f32_e32 v177, v44, v177                              // 00000001A34C: 0B63632C
	v_mul_f32_e32 v178, v44, v178                              // 00000001A350: 0B65652C
	v_mul_f32_e32 v179, v44, v179                              // 00000001A354: 0B67672C
	v_mul_f32_e32 v180, v44, v180                              // 00000001A358: 0B69692C
	v_mul_f32_e32 v181, v44, v181                              // 00000001A35C: 0B6B6B2C
	v_mul_f32_e32 v182, v44, v182                              // 00000001A360: 0B6D6D2C
	v_mul_f32_e32 v183, v44, v183                              // 00000001A364: 0B6F6F2C
	v_add_f32_e32 v208, v208, v176                             // 00000001A368: 03A161D0
	v_add_f32_e32 v209, v209, v177                             // 00000001A36C: 03A363D1
	v_add_f32_e32 v210, v210, v178                             // 00000001A370: 03A565D2
	v_add_f32_e32 v211, v211, v179                             // 00000001A374: 03A767D3
	v_add_f32_e32 v212, v212, v180                             // 00000001A378: 03A969D4
	v_add_f32_e32 v213, v213, v181                             // 00000001A37C: 03AB6BD5
	v_add_f32_e32 v214, v214, v182                             // 00000001A380: 03AD6DD6
	v_add_f32_e32 v215, v215, v183                             // 00000001A384: 03AF6FD7
	ds_write_b32 v8, v38 offset:16896                          // 00000001A388: D81A4200 00002608
	s_waitcnt lgkmcnt(0)                                       // 00000001A390: BF8CC07F
	s_barrier                                                  // 00000001A394: BF8A0000
	ds_read_b32 v64, v7 offset:16896                           // 00000001A398: D86C4200 40000007
	ds_read_b32 v65, v7 offset:16960                           // 00000001A3A0: D86C4240 41000007
	ds_read_b32 v66, v7 offset:17024                           // 00000001A3A8: D86C4280 42000007
	ds_read_b32 v67, v7 offset:17088                           // 00000001A3B0: D86C42C0 43000007
	ds_read_b32 v68, v7 offset:17152                           // 00000001A3B8: D86C4300 44000007
	ds_read_b32 v69, v7 offset:17216                           // 00000001A3C0: D86C4340 45000007
	ds_read_b32 v70, v7 offset:17280                           // 00000001A3C8: D86C4380 46000007
	ds_read_b32 v71, v7 offset:17344                           // 00000001A3D0: D86C43C0 47000007
	ds_read_b32 v72, v7 offset:17408                           // 00000001A3D8: D86C4400 48000007
	ds_read_b32 v73, v7 offset:17472                           // 00000001A3E0: D86C4440 49000007
	ds_read_b32 v74, v7 offset:17536                           // 00000001A3E8: D86C4480 4A000007
	ds_read_b32 v75, v7 offset:17600                           // 00000001A3F0: D86C44C0 4B000007
	ds_read_b32 v76, v7 offset:17664                           // 00000001A3F8: D86C4500 4C000007
	ds_read_b32 v77, v7 offset:17728                           // 00000001A400: D86C4540 4D000007
	ds_read_b32 v78, v7 offset:17792                           // 00000001A408: D86C4580 4E000007
	ds_read_b32 v79, v7 offset:17856                           // 00000001A410: D86C45C0 4F000007
	s_waitcnt lgkmcnt(0)                                       // 00000001A418: BF8CC07F
	v_mov_b32_e32 v38, 0                                       // 00000001A41C: 7E4C0280
	v_add_f32_e32 v38, v64, v38                                // 00000001A420: 024C4D40
	v_add_f32_e32 v38, v65, v38                                // 00000001A424: 024C4D41
	v_add_f32_e32 v38, v66, v38                                // 00000001A428: 024C4D42
	v_add_f32_e32 v38, v67, v38                                // 00000001A42C: 024C4D43
	v_add_f32_e32 v38, v68, v38                                // 00000001A430: 024C4D44
	v_add_f32_e32 v38, v69, v38                                // 00000001A434: 024C4D45
	v_add_f32_e32 v38, v70, v38                                // 00000001A438: 024C4D46
	v_add_f32_e32 v38, v71, v38                                // 00000001A43C: 024C4D47
	v_add_f32_e32 v38, v72, v38                                // 00000001A440: 024C4D48
	v_add_f32_e32 v38, v73, v38                                // 00000001A444: 024C4D49
	v_add_f32_e32 v38, v74, v38                                // 00000001A448: 024C4D4A
	v_add_f32_e32 v38, v75, v38                                // 00000001A44C: 024C4D4B
	v_add_f32_e32 v38, v76, v38                                // 00000001A450: 024C4D4C
	v_add_f32_e32 v38, v77, v38                                // 00000001A454: 024C4D4D
	v_add_f32_e32 v38, v78, v38                                // 00000001A458: 024C4D4E
	v_add_f32_e32 v38, v79, v38                                // 00000001A45C: 024C4D4F
	s_nop 1                                                    // 00000001A460: BF800001
	v_rcp_f32_e32 v38, v38                                     // 00000001A464: 7E4C4526
	s_nop 1                                                    // 00000001A468: BF800001
	v_mul_f32_e32 v208, v38, v208                              // 00000001A46C: 0BA1A126
	v_mul_f32_e32 v209, v38, v209                              // 00000001A470: 0BA3A326
	v_mul_f32_e32 v210, v38, v210                              // 00000001A474: 0BA5A526
	v_mul_f32_e32 v211, v38, v211                              // 00000001A478: 0BA7A726
	v_mul_f32_e32 v212, v38, v212                              // 00000001A47C: 0BA9A926
	v_mul_f32_e32 v213, v38, v213                              // 00000001A480: 0BABAB26
	v_mul_f32_e32 v214, v38, v214                              // 00000001A484: 0BADAD26
	v_mul_f32_e32 v215, v38, v215                              // 00000001A488: 0BAFAF26
	v_mov_b32_e32 v19, 0xffff0000                              // 00000001A48C: 7E2602FF FFFF0000
	v_mov_b32_e32 v20, 0x7fff0000                              // 00000001A494: 7E2802FF 7FFF0000
	v_mov_b32_e32 v21, 0x7fff                                  // 00000001A49C: 7E2A02FF 00007FFF
	v_cvt_pkrtz_f16_f32 v64, v208, v209                        // 00000001A4A4: D2960040 0003A3D0
	v_mov_b32_e32 v208, v64                                    // 00000001A4AC: 7FA00340
	v_cvt_pkrtz_f16_f32 v64, v210, v211                        // 00000001A4B0: D2960040 0003A7D2
	v_mov_b32_e32 v209, v64                                    // 00000001A4B8: 7FA20340
	v_cvt_pkrtz_f16_f32 v64, v212, v213                        // 00000001A4BC: D2960040 0003ABD4
	v_mov_b32_e32 v210, v64                                    // 00000001A4C4: 7FA40340
	v_cvt_pkrtz_f16_f32 v64, v214, v215                        // 00000001A4C8: D2960040 0003AFD6
	v_mov_b32_e32 v211, v64                                    // 00000001A4D0: 7FA60340
	s_nop 1                                                    // 00000001A4D4: BF800001
	v_lshrrev_b32_e32 v64, 4, v0                               // 00000001A4D8: 20800084
	v_mul_i32_i24_e32 v68, 34, v64                             // 00000001A4DC: 0C8880A2
	v_and_b32_e32 v64, 15, v0                                  // 00000001A4E0: 2680008F
	v_mul_i32_i24_e32 v65, 2, v64                              // 00000001A4E4: 0C828082
	v_add_u32_e32 v68, v65, v68                                // 00000001A4E8: 68888941
	s_mul_i32 s60, s7, 0x88                                    // 00000001A4EC: 923CFF07 00000088
	v_add_u32_e32 v68, s60, v68                                // 00000001A4F4: 6888883C
	v_lshlrev_b32_e32 v68, 2, v68                              // 00000001A4F8: 24888882
	ds_write_b64 v68, v[208:209] offset:41472                  // 00000001A4FC: D89AA200 0000D044
	ds_write_b64 v68, v[210:211] offset:43648                  // 00000001A504: D89AAA80 0000D244
	v_lshrrev_b32_e32 v64, 1, v0                               // 00000001A50C: 20800081
	v_mul_i32_i24_e32 v68, 34, v64                             // 00000001A510: 0C8880A2
	v_and_b32_e32 v65, 1, v0                                   // 00000001A514: 26820081
	v_add_u32_e32 v68, v65, v68                                // 00000001A518: 68888941
	s_mul_i32 s60, s7, 2                                       // 00000001A51C: 923C8207
	v_add_u32_e32 v68, s60, v68                                // 00000001A520: 6888883C
	v_lshlrev_b32_e32 v68, 2, v68                              // 00000001A524: 24888882
	s_waitcnt lgkmcnt(0)                                       // 00000001A528: BF8CC07F
	s_barrier                                                  // 00000001A52C: BF8A0000
	ds_read_b32 v208, v68 offset:41472                         // 00000001A530: D86CA200 D0000044
	ds_read_b32 v209, v68 offset:41504                         // 00000001A538: D86CA220 D1000044
	ds_read_b32 v210, v68 offset:41536                         // 00000001A540: D86CA240 D2000044
	ds_read_b32 v211, v68 offset:41568                         // 00000001A548: D86CA260 D3000044
	s_mul_i32 s60, s7, 0x100                                   // 00000001A550: 923CFF07 00000100
	v_lshlrev_b32_e32 v64, 2, v0                               // 00000001A558: 24800082
	v_add_u32_e64 v64, v64, s60                                // 00000001A55C: D1340040 00007940
	s_waitcnt lgkmcnt(0)                                       // 00000001A564: BF8CC07F
	buffer_store_dword v208, v64, s[8:11], 0 offen             // 00000001A568: E0701000 8002D040
	buffer_store_dword v209, v64, s[8:11], 0 offen offset:1024 // 00000001A570: E0701400 8002D140
	buffer_store_dword v210, v64, s[8:11], 0 offen offset:2048 // 00000001A578: E0701800 8002D240
	buffer_store_dword v211, v64, s[8:11], 0 offen offset:3072 // 00000001A580: E0701C00 8002D340
	s_add_u32 s8, s75, s8                                      // 00000001A588: 8008084B
	s_addc_u32 s9, 0, s9                                       // 00000001A58C: 82090980
	v_mul_f32_e32 v216, v50, v216                              // 00000001A590: 0BB1B132
	v_mul_f32_e32 v217, v50, v217                              // 00000001A594: 0BB3B332
	v_mul_f32_e32 v218, v50, v218                              // 00000001A598: 0BB5B532
	v_mul_f32_e32 v219, v50, v219                              // 00000001A59C: 0BB7B732
	v_mul_f32_e32 v220, v50, v220                              // 00000001A5A0: 0BB9B932
	v_mul_f32_e32 v221, v50, v221                              // 00000001A5A4: 0BBBBB32
	v_mul_f32_e32 v222, v50, v222                              // 00000001A5A8: 0BBDBD32
	v_mul_f32_e32 v223, v50, v223                              // 00000001A5AC: 0BBFBF32
	v_cvt_f32_i32_e32 v184, v184                               // 00000001A5B0: 7F700BB8
	v_cvt_f32_i32_e32 v185, v185                               // 00000001A5B4: 7F720BB9
	v_cvt_f32_i32_e32 v186, v186                               // 00000001A5B8: 7F740BBA
	v_cvt_f32_i32_e32 v187, v187                               // 00000001A5BC: 7F760BBB
	v_cvt_f32_i32_e32 v188, v188                               // 00000001A5C0: 7F780BBC
	v_cvt_f32_i32_e32 v189, v189                               // 00000001A5C4: 7F7A0BBD
	v_cvt_f32_i32_e32 v190, v190                               // 00000001A5C8: 7F7C0BBE
	v_cvt_f32_i32_e32 v191, v191                               // 00000001A5CC: 7F7E0BBF
	v_mul_f32_e32 v184, v45, v184                              // 00000001A5D0: 0B71712D
	v_mul_f32_e32 v185, v45, v185                              // 00000001A5D4: 0B73732D
	v_mul_f32_e32 v186, v45, v186                              // 00000001A5D8: 0B75752D
	v_mul_f32_e32 v187, v45, v187                              // 00000001A5DC: 0B77772D
	v_mul_f32_e32 v188, v45, v188                              // 00000001A5E0: 0B79792D
	v_mul_f32_e32 v189, v45, v189                              // 00000001A5E4: 0B7B7B2D
	v_mul_f32_e32 v190, v45, v190                              // 00000001A5E8: 0B7D7D2D
	v_mul_f32_e32 v191, v45, v191                              // 00000001A5EC: 0B7F7F2D
	v_add_f32_e32 v216, v216, v184                             // 00000001A5F0: 03B171D8
	v_add_f32_e32 v217, v217, v185                             // 00000001A5F4: 03B373D9
	v_add_f32_e32 v218, v218, v186                             // 00000001A5F8: 03B575DA
	v_add_f32_e32 v219, v219, v187                             // 00000001A5FC: 03B777DB
	v_add_f32_e32 v220, v220, v188                             // 00000001A600: 03B979DC
	v_add_f32_e32 v221, v221, v189                             // 00000001A604: 03BB7BDD
	v_add_f32_e32 v222, v222, v190                             // 00000001A608: 03BD7DDE
	v_add_f32_e32 v223, v223, v191                             // 00000001A60C: 03BF7FDF
	ds_write_b32 v8, v39 offset:16896                          // 00000001A610: D81A4200 00002708
	s_waitcnt lgkmcnt(0)                                       // 00000001A618: BF8CC07F
	s_barrier                                                  // 00000001A61C: BF8A0000
	ds_read_b32 v64, v7 offset:16896                           // 00000001A620: D86C4200 40000007
	ds_read_b32 v65, v7 offset:16960                           // 00000001A628: D86C4240 41000007
	ds_read_b32 v66, v7 offset:17024                           // 00000001A630: D86C4280 42000007
	ds_read_b32 v67, v7 offset:17088                           // 00000001A638: D86C42C0 43000007
	ds_read_b32 v68, v7 offset:17152                           // 00000001A640: D86C4300 44000007
	ds_read_b32 v69, v7 offset:17216                           // 00000001A648: D86C4340 45000007
	ds_read_b32 v70, v7 offset:17280                           // 00000001A650: D86C4380 46000007
	ds_read_b32 v71, v7 offset:17344                           // 00000001A658: D86C43C0 47000007
	ds_read_b32 v72, v7 offset:17408                           // 00000001A660: D86C4400 48000007
	ds_read_b32 v73, v7 offset:17472                           // 00000001A668: D86C4440 49000007
	ds_read_b32 v74, v7 offset:17536                           // 00000001A670: D86C4480 4A000007
	ds_read_b32 v75, v7 offset:17600                           // 00000001A678: D86C44C0 4B000007
	ds_read_b32 v76, v7 offset:17664                           // 00000001A680: D86C4500 4C000007
	ds_read_b32 v77, v7 offset:17728                           // 00000001A688: D86C4540 4D000007
	ds_read_b32 v78, v7 offset:17792                           // 00000001A690: D86C4580 4E000007
	ds_read_b32 v79, v7 offset:17856                           // 00000001A698: D86C45C0 4F000007
	s_waitcnt lgkmcnt(0)                                       // 00000001A6A0: BF8CC07F
	v_mov_b32_e32 v39, 0                                       // 00000001A6A4: 7E4E0280
	v_add_f32_e32 v39, v64, v39                                // 00000001A6A8: 024E4F40
	v_add_f32_e32 v39, v65, v39                                // 00000001A6AC: 024E4F41
	v_add_f32_e32 v39, v66, v39                                // 00000001A6B0: 024E4F42
	v_add_f32_e32 v39, v67, v39                                // 00000001A6B4: 024E4F43
	v_add_f32_e32 v39, v68, v39                                // 00000001A6B8: 024E4F44
	v_add_f32_e32 v39, v69, v39                                // 00000001A6BC: 024E4F45
	v_add_f32_e32 v39, v70, v39                                // 00000001A6C0: 024E4F46
	v_add_f32_e32 v39, v71, v39                                // 00000001A6C4: 024E4F47
	v_add_f32_e32 v39, v72, v39                                // 00000001A6C8: 024E4F48
	v_add_f32_e32 v39, v73, v39                                // 00000001A6CC: 024E4F49
	v_add_f32_e32 v39, v74, v39                                // 00000001A6D0: 024E4F4A
	v_add_f32_e32 v39, v75, v39                                // 00000001A6D4: 024E4F4B
	v_add_f32_e32 v39, v76, v39                                // 00000001A6D8: 024E4F4C
	v_add_f32_e32 v39, v77, v39                                // 00000001A6DC: 024E4F4D
	v_add_f32_e32 v39, v78, v39                                // 00000001A6E0: 024E4F4E
	v_add_f32_e32 v39, v79, v39                                // 00000001A6E4: 024E4F4F
	s_nop 1                                                    // 00000001A6E8: BF800001
	v_rcp_f32_e32 v39, v39                                     // 00000001A6EC: 7E4E4527
	s_nop 1                                                    // 00000001A6F0: BF800001
	v_mul_f32_e32 v216, v39, v216                              // 00000001A6F4: 0BB1B127
	v_mul_f32_e32 v217, v39, v217                              // 00000001A6F8: 0BB3B327
	v_mul_f32_e32 v218, v39, v218                              // 00000001A6FC: 0BB5B527
	v_mul_f32_e32 v219, v39, v219                              // 00000001A700: 0BB7B727
	v_mul_f32_e32 v220, v39, v220                              // 00000001A704: 0BB9B927
	v_mul_f32_e32 v221, v39, v221                              // 00000001A708: 0BBBBB27
	v_mul_f32_e32 v222, v39, v222                              // 00000001A70C: 0BBDBD27
	v_mul_f32_e32 v223, v39, v223                              // 00000001A710: 0BBFBF27
	v_mov_b32_e32 v19, 0xffff0000                              // 00000001A714: 7E2602FF FFFF0000
	v_mov_b32_e32 v20, 0x7fff0000                              // 00000001A71C: 7E2802FF 7FFF0000
	v_mov_b32_e32 v21, 0x7fff                                  // 00000001A724: 7E2A02FF 00007FFF
	v_cvt_pkrtz_f16_f32 v64, v216, v217                        // 00000001A72C: D2960040 0003B3D8
	v_mov_b32_e32 v216, v64                                    // 00000001A734: 7FB00340
	v_cvt_pkrtz_f16_f32 v64, v218, v219                        // 00000001A738: D2960040 0003B7DA
	v_mov_b32_e32 v217, v64                                    // 00000001A740: 7FB20340
	v_cvt_pkrtz_f16_f32 v64, v220, v221                        // 00000001A744: D2960040 0003BBDC
	v_mov_b32_e32 v218, v64                                    // 00000001A74C: 7FB40340
	v_cvt_pkrtz_f16_f32 v64, v222, v223                        // 00000001A750: D2960040 0003BFDE
	v_mov_b32_e32 v219, v64                                    // 00000001A758: 7FB60340
	s_nop 1                                                    // 00000001A75C: BF800001
	v_lshrrev_b32_e32 v64, 4, v0                               // 00000001A760: 20800084
	v_mul_i32_i24_e32 v68, 34, v64                             // 00000001A764: 0C8880A2
	v_and_b32_e32 v64, 15, v0                                  // 00000001A768: 2680008F
	v_mul_i32_i24_e32 v65, 2, v64                              // 00000001A76C: 0C828082
	v_add_u32_e32 v68, v65, v68                                // 00000001A770: 68888941
	s_mul_i32 s60, s7, 0x88                                    // 00000001A774: 923CFF07 00000088
	v_add_u32_e32 v68, s60, v68                                // 00000001A77C: 6888883C
	v_lshlrev_b32_e32 v68, 2, v68                              // 00000001A780: 24888882
	ds_write_b64 v68, v[216:217] offset:41472                  // 00000001A784: D89AA200 0000D844
	ds_write_b64 v68, v[218:219] offset:43648                  // 00000001A78C: D89AAA80 0000DA44
	v_lshrrev_b32_e32 v64, 1, v0                               // 00000001A794: 20800081
	v_mul_i32_i24_e32 v68, 34, v64                             // 00000001A798: 0C8880A2
	v_and_b32_e32 v65, 1, v0                                   // 00000001A79C: 26820081
	v_add_u32_e32 v68, v65, v68                                // 00000001A7A0: 68888941
	s_mul_i32 s60, s7, 2                                       // 00000001A7A4: 923C8207
	v_add_u32_e32 v68, s60, v68                                // 00000001A7A8: 6888883C
	v_lshlrev_b32_e32 v68, 2, v68                              // 00000001A7AC: 24888882
	s_waitcnt lgkmcnt(0)                                       // 00000001A7B0: BF8CC07F
	s_barrier                                                  // 00000001A7B4: BF8A0000
	ds_read_b32 v216, v68 offset:41472                         // 00000001A7B8: D86CA200 D8000044
	ds_read_b32 v217, v68 offset:41504                         // 00000001A7C0: D86CA220 D9000044
	ds_read_b32 v218, v68 offset:41536                         // 00000001A7C8: D86CA240 DA000044
	ds_read_b32 v219, v68 offset:41568                         // 00000001A7D0: D86CA260 DB000044
	s_mul_i32 s60, s7, 0x100                                   // 00000001A7D8: 923CFF07 00000100
	v_lshlrev_b32_e32 v64, 2, v0                               // 00000001A7E0: 24800082
	v_add_u32_e64 v64, v64, s60                                // 00000001A7E4: D1340040 00007940
	s_waitcnt lgkmcnt(0)                                       // 00000001A7EC: BF8CC07F
	buffer_store_dword v216, v64, s[8:11], 0 offen             // 00000001A7F0: E0701000 8002D840
	buffer_store_dword v217, v64, s[8:11], 0 offen offset:1024 // 00000001A7F8: E0701400 8002D940
	buffer_store_dword v218, v64, s[8:11], 0 offen offset:2048 // 00000001A800: E0701800 8002DA40
	buffer_store_dword v219, v64, s[8:11], 0 offen offset:3072 // 00000001A808: E0701C00 8002DB40
	s_add_u32 s8, s75, s8                                      // 00000001A810: 8008084B
	s_addc_u32 s9, 0, s9                                       // 00000001A814: 82090980
	v_mul_f32_e32 v224, v51, v224                              // 00000001A818: 0BC1C133
	v_mul_f32_e32 v225, v51, v225                              // 00000001A81C: 0BC3C333
	v_mul_f32_e32 v226, v51, v226                              // 00000001A820: 0BC5C533
	v_mul_f32_e32 v227, v51, v227                              // 00000001A824: 0BC7C733
	v_mul_f32_e32 v228, v51, v228                              // 00000001A828: 0BC9C933
	v_mul_f32_e32 v229, v51, v229                              // 00000001A82C: 0BCBCB33
	v_mul_f32_e32 v230, v51, v230                              // 00000001A830: 0BCDCD33
	v_mul_f32_e32 v231, v51, v231                              // 00000001A834: 0BCFCF33
	v_cvt_f32_i32_e32 v192, v192                               // 00000001A838: 7F800BC0
	v_cvt_f32_i32_e32 v193, v193                               // 00000001A83C: 7F820BC1
	v_cvt_f32_i32_e32 v194, v194                               // 00000001A840: 7F840BC2
	v_cvt_f32_i32_e32 v195, v195                               // 00000001A844: 7F860BC3
	v_cvt_f32_i32_e32 v196, v196                               // 00000001A848: 7F880BC4
	v_cvt_f32_i32_e32 v197, v197                               // 00000001A84C: 7F8A0BC5
	v_cvt_f32_i32_e32 v198, v198                               // 00000001A850: 7F8C0BC6
	v_cvt_f32_i32_e32 v199, v199                               // 00000001A854: 7F8E0BC7
	v_mul_f32_e32 v192, v46, v192                              // 00000001A858: 0B81812E
	v_mul_f32_e32 v193, v46, v193                              // 00000001A85C: 0B83832E
	v_mul_f32_e32 v194, v46, v194                              // 00000001A860: 0B85852E
	v_mul_f32_e32 v195, v46, v195                              // 00000001A864: 0B87872E
	v_mul_f32_e32 v196, v46, v196                              // 00000001A868: 0B89892E
	v_mul_f32_e32 v197, v46, v197                              // 00000001A86C: 0B8B8B2E
	v_mul_f32_e32 v198, v46, v198                              // 00000001A870: 0B8D8D2E
	v_mul_f32_e32 v199, v46, v199                              // 00000001A874: 0B8F8F2E
	v_add_f32_e32 v224, v224, v192                             // 00000001A878: 03C181E0
	v_add_f32_e32 v225, v225, v193                             // 00000001A87C: 03C383E1
	v_add_f32_e32 v226, v226, v194                             // 00000001A880: 03C585E2
	v_add_f32_e32 v227, v227, v195                             // 00000001A884: 03C787E3
	v_add_f32_e32 v228, v228, v196                             // 00000001A888: 03C989E4
	v_add_f32_e32 v229, v229, v197                             // 00000001A88C: 03CB8BE5
	v_add_f32_e32 v230, v230, v198                             // 00000001A890: 03CD8DE6
	v_add_f32_e32 v231, v231, v199                             // 00000001A894: 03CF8FE7
	ds_write_b32 v8, v40 offset:16896                          // 00000001A898: D81A4200 00002808
	s_waitcnt lgkmcnt(0)                                       // 00000001A8A0: BF8CC07F
	s_barrier                                                  // 00000001A8A4: BF8A0000
	ds_read_b32 v64, v7 offset:16896                           // 00000001A8A8: D86C4200 40000007
	ds_read_b32 v65, v7 offset:16960                           // 00000001A8B0: D86C4240 41000007
	ds_read_b32 v66, v7 offset:17024                           // 00000001A8B8: D86C4280 42000007
	ds_read_b32 v67, v7 offset:17088                           // 00000001A8C0: D86C42C0 43000007
	ds_read_b32 v68, v7 offset:17152                           // 00000001A8C8: D86C4300 44000007
	ds_read_b32 v69, v7 offset:17216                           // 00000001A8D0: D86C4340 45000007
	ds_read_b32 v70, v7 offset:17280                           // 00000001A8D8: D86C4380 46000007
	ds_read_b32 v71, v7 offset:17344                           // 00000001A8E0: D86C43C0 47000007
	ds_read_b32 v72, v7 offset:17408                           // 00000001A8E8: D86C4400 48000007
	ds_read_b32 v73, v7 offset:17472                           // 00000001A8F0: D86C4440 49000007
	ds_read_b32 v74, v7 offset:17536                           // 00000001A8F8: D86C4480 4A000007
	ds_read_b32 v75, v7 offset:17600                           // 00000001A900: D86C44C0 4B000007
	ds_read_b32 v76, v7 offset:17664                           // 00000001A908: D86C4500 4C000007
	ds_read_b32 v77, v7 offset:17728                           // 00000001A910: D86C4540 4D000007
	ds_read_b32 v78, v7 offset:17792                           // 00000001A918: D86C4580 4E000007
	ds_read_b32 v79, v7 offset:17856                           // 00000001A920: D86C45C0 4F000007
	s_waitcnt lgkmcnt(0)                                       // 00000001A928: BF8CC07F
	v_mov_b32_e32 v40, 0                                       // 00000001A92C: 7E500280
	v_add_f32_e32 v40, v64, v40                                // 00000001A930: 02505140
	v_add_f32_e32 v40, v65, v40                                // 00000001A934: 02505141
	v_add_f32_e32 v40, v66, v40                                // 00000001A938: 02505142
	v_add_f32_e32 v40, v67, v40                                // 00000001A93C: 02505143
	v_add_f32_e32 v40, v68, v40                                // 00000001A940: 02505144
	v_add_f32_e32 v40, v69, v40                                // 00000001A944: 02505145
	v_add_f32_e32 v40, v70, v40                                // 00000001A948: 02505146
	v_add_f32_e32 v40, v71, v40                                // 00000001A94C: 02505147
	v_add_f32_e32 v40, v72, v40                                // 00000001A950: 02505148
	v_add_f32_e32 v40, v73, v40                                // 00000001A954: 02505149
	v_add_f32_e32 v40, v74, v40                                // 00000001A958: 0250514A
	v_add_f32_e32 v40, v75, v40                                // 00000001A95C: 0250514B
	v_add_f32_e32 v40, v76, v40                                // 00000001A960: 0250514C
	v_add_f32_e32 v40, v77, v40                                // 00000001A964: 0250514D
	v_add_f32_e32 v40, v78, v40                                // 00000001A968: 0250514E
	v_add_f32_e32 v40, v79, v40                                // 00000001A96C: 0250514F
	s_nop 1                                                    // 00000001A970: BF800001
	v_rcp_f32_e32 v40, v40                                     // 00000001A974: 7E504528
	s_nop 1                                                    // 00000001A978: BF800001
	v_mul_f32_e32 v224, v40, v224                              // 00000001A97C: 0BC1C128
	v_mul_f32_e32 v225, v40, v225                              // 00000001A980: 0BC3C328
	v_mul_f32_e32 v226, v40, v226                              // 00000001A984: 0BC5C528
	v_mul_f32_e32 v227, v40, v227                              // 00000001A988: 0BC7C728
	v_mul_f32_e32 v228, v40, v228                              // 00000001A98C: 0BC9C928
	v_mul_f32_e32 v229, v40, v229                              // 00000001A990: 0BCBCB28
	v_mul_f32_e32 v230, v40, v230                              // 00000001A994: 0BCDCD28
	v_mul_f32_e32 v231, v40, v231                              // 00000001A998: 0BCFCF28
	v_mov_b32_e32 v19, 0xffff0000                              // 00000001A99C: 7E2602FF FFFF0000
	v_mov_b32_e32 v20, 0x7fff0000                              // 00000001A9A4: 7E2802FF 7FFF0000
	v_mov_b32_e32 v21, 0x7fff                                  // 00000001A9AC: 7E2A02FF 00007FFF
	v_cvt_pkrtz_f16_f32 v64, v224, v225                        // 00000001A9B4: D2960040 0003C3E0
	v_mov_b32_e32 v224, v64                                    // 00000001A9BC: 7FC00340
	v_cvt_pkrtz_f16_f32 v64, v226, v227                        // 00000001A9C0: D2960040 0003C7E2
	v_mov_b32_e32 v225, v64                                    // 00000001A9C8: 7FC20340
	v_cvt_pkrtz_f16_f32 v64, v228, v229                        // 00000001A9CC: D2960040 0003CBE4
	v_mov_b32_e32 v226, v64                                    // 00000001A9D4: 7FC40340
	v_cvt_pkrtz_f16_f32 v64, v230, v231                        // 00000001A9D8: D2960040 0003CFE6
	v_mov_b32_e32 v227, v64                                    // 00000001A9E0: 7FC60340
	s_nop 1                                                    // 00000001A9E4: BF800001
	v_lshrrev_b32_e32 v64, 4, v0                               // 00000001A9E8: 20800084
	v_mul_i32_i24_e32 v68, 34, v64                             // 00000001A9EC: 0C8880A2
	v_and_b32_e32 v64, 15, v0                                  // 00000001A9F0: 2680008F
	v_mul_i32_i24_e32 v65, 2, v64                              // 00000001A9F4: 0C828082
	v_add_u32_e32 v68, v65, v68                                // 00000001A9F8: 68888941
	s_mul_i32 s60, s7, 0x88                                    // 00000001A9FC: 923CFF07 00000088
	v_add_u32_e32 v68, s60, v68                                // 00000001AA04: 6888883C
	v_lshlrev_b32_e32 v68, 2, v68                              // 00000001AA08: 24888882
	ds_write_b64 v68, v[224:225] offset:41472                  // 00000001AA0C: D89AA200 0000E044
	ds_write_b64 v68, v[226:227] offset:43648                  // 00000001AA14: D89AAA80 0000E244
	v_lshrrev_b32_e32 v64, 1, v0                               // 00000001AA1C: 20800081
	v_mul_i32_i24_e32 v68, 34, v64                             // 00000001AA20: 0C8880A2
	v_and_b32_e32 v65, 1, v0                                   // 00000001AA24: 26820081
	v_add_u32_e32 v68, v65, v68                                // 00000001AA28: 68888941
	s_mul_i32 s60, s7, 2                                       // 00000001AA2C: 923C8207
	v_add_u32_e32 v68, s60, v68                                // 00000001AA30: 6888883C
	v_lshlrev_b32_e32 v68, 2, v68                              // 00000001AA34: 24888882
	s_waitcnt lgkmcnt(0)                                       // 00000001AA38: BF8CC07F
	s_barrier                                                  // 00000001AA3C: BF8A0000
	ds_read_b32 v224, v68 offset:41472                         // 00000001AA40: D86CA200 E0000044
	ds_read_b32 v225, v68 offset:41504                         // 00000001AA48: D86CA220 E1000044
	ds_read_b32 v226, v68 offset:41536                         // 00000001AA50: D86CA240 E2000044
	ds_read_b32 v227, v68 offset:41568                         // 00000001AA58: D86CA260 E3000044
	s_mul_i32 s60, s7, 0x100                                   // 00000001AA60: 923CFF07 00000100
	v_lshlrev_b32_e32 v64, 2, v0                               // 00000001AA68: 24800082
	v_add_u32_e64 v64, v64, s60                                // 00000001AA6C: D1340040 00007940
	s_waitcnt lgkmcnt(0)                                       // 00000001AA74: BF8CC07F
	buffer_store_dword v224, v64, s[8:11], 0 offen             // 00000001AA78: E0701000 8002E040
	buffer_store_dword v225, v64, s[8:11], 0 offen offset:1024 // 00000001AA80: E0701400 8002E140
	buffer_store_dword v226, v64, s[8:11], 0 offen offset:2048 // 00000001AA88: E0701800 8002E240
	buffer_store_dword v227, v64, s[8:11], 0 offen offset:3072 // 00000001AA90: E0701C00 8002E340
	s_add_u32 s8, s75, s8                                      // 00000001AA98: 8008084B
	s_addc_u32 s9, 0, s9                                       // 00000001AA9C: 82090980

000000000001aaa0 <label_6228>:
	s_branch label_A0D8                                        // 00000001AAA0: BF823EAF

000000000001aaa4 <label_6229>:
	s_mul_i32 s60, s3, s65                                     // 00000001AAA4: 923C4103
	s_mul_i32 s60, s60, 4                                      // 00000001AAA8: 923C843C
	s_add_u32 s24, s60, s24                                    // 00000001AAAC: 8018183C
	s_addc_u32 s25, 0, s25                                     // 00000001AAB0: 82191980
	s_mov_b32 s56, 64                                          // 00000001AAB4: BEB800C0
	s_add_u32 s73, s72, 15                                     // 00000001AAB8: 80498F48
	s_lshr_b32 s73, s73, 4                                     // 00000001AABC: 8F498449
	s_mul_i32 s60, s73, 4                                      // 00000001AAC0: 923C8449
	s_mov_b32 s26, s60                                         // 00000001AAC4: BE9A003C
	v_and_b32_e32 v65, 3, v0                                   // 00000001AAC8: 26820083
	v_cmp_eq_u32_e64 s[60:61], 0, v65                          // 00000001AACC: D0CA003C 00028280
	v_and_b32_e32 v64, 12, v0                                  // 00000001AAD4: 2680008C
	v_add_u32_e32 v1, s7, v64                                  // 00000001AAD8: 68028007
	v_cndmask_b32_e64 v1, 0, v1, s[60:61]                      // 00000001AADC: D1000001 00F20280
	v_and_b32_e32 v65, 3, v0                                   // 00000001AAE4: 26820083
	v_cmp_eq_u32_e64 s[60:61], 1, v65                          // 00000001AAE8: D0CA003C 00028281
	v_lshrrev_b32_e32 v64, 4, v0                               // 00000001AAF0: 20800084
	v_and_b32_e32 v65, 12, v0                                  // 00000001AAF4: 2682008C
	v_add_u32_e32 v64, v65, v64                                // 00000001AAF8: 68808141
	v_cndmask_b32_e64 v64, 0, v64, s[60:61]                    // 00000001AAFC: D1000040 00F28080
	v_add_u32_e32 v1, v1, v64                                  // 00000001AB04: 68028101
	v_lshlrev_b32_e32 v1, 2, v1                                // 00000001AB08: 24020282
	buffer_load_dword v16, v1, s[24:27], 0 offen               // 00000001AB0C: E0501000 80061001
	v_add_u32_e32 v1, s56, v1                                  // 00000001AB14: 68020238
	buffer_load_dword v17, v1, s[24:27], 0 offen               // 00000001AB18: E0501000 80061101
	s_cmp_le_u32 s73, 32                                       // 00000001AB20: BF0BA049
	s_cselect_b32 s56, 0, s56                                  // 00000001AB24: 85383880
	s_mul_i32 s60, s2, s67                                     // 00000001AB28: 923C4302
	s_mul_i32 s61, s84, s74                                    // 00000001AB2C: 923D4A54
	s_add_u32 s60, s60, s61                                    // 00000001AB30: 803C3D3C
	s_add_u32 s12, s60, s12                                    // 00000001AB34: 800C0C3C
	s_addc_u32 s13, 0, s13                                     // 00000001AB38: 820D0D80
	s_mul_i32 s60, s7, 0x108                                   // 00000001AB3C: 923CFF07 00000108
	s_add_u32 m0, 0, s60                                       // 00000001AB44: 807C3C80
	s_mul_i32 s60, s7, 0x100                                   // 00000001AB48: 923CFF07 00000100
	v_lshlrev_b32_e32 v64, 2, v0                               // 00000001AB50: 24800082
	v_add_u32_e64 v64, v64, s60                                // 00000001AB54: D1340040 00007940
	v_add_u32_e32 v65, 0x400, v64                              // 00000001AB5C: 688280FF 00000400
	v_add_u32_e32 v66, 0x800, v64                              // 00000001AB64: 688480FF 00000800
	v_add_u32_e32 v67, 0xc00, v64                              // 00000001AB6C: 688680FF 00000C00
	buffer_load_dword v64, s[12:15], 0 offen lds               // 00000001AB74: E0511000 80030040
	s_mul_i32 s60, 4, 0x108                                    // 00000001AB7C: 923CFF84 00000108
	s_add_u32 m0, m0, s60                                      // 00000001AB84: 807C3C7C
	buffer_load_dword v65, s[12:15], 0 offen lds               // 00000001AB88: E0511000 80030041
	s_mul_i32 s60, 4, 0x108                                    // 00000001AB90: 923CFF84 00000108
	s_add_u32 m0, m0, s60                                      // 00000001AB98: 807C3C7C
	buffer_load_dword v66, s[12:15], 0 offen lds               // 00000001AB9C: E0511000 80030042
	s_mul_i32 s60, 4, 0x108                                    // 00000001ABA4: 923CFF84 00000108
	s_add_u32 m0, m0, s60                                      // 00000001ABAC: 807C3C7C
	buffer_load_dword v67, s[12:15], 0 offen lds               // 00000001ABB0: E0511000 80030043
	s_mul_i32 s60, 4, 0x108                                    // 00000001ABB8: 923CFF84 00000108
	s_add_u32 m0, m0, s60                                      // 00000001ABC0: 807C3C7C
	s_add_u32 s12, s74, s12                                    // 00000001ABC4: 800C0C4A
	s_addc_u32 s13, 0, s13                                     // 00000001ABC8: 820D0D80
	buffer_load_dword v64, s[12:15], 0 offen lds               // 00000001ABCC: E0511000 80030040
	s_mul_i32 s60, 4, 0x108                                    // 00000001ABD4: 923CFF84 00000108
	s_add_u32 m0, m0, s60                                      // 00000001ABDC: 807C3C7C
	buffer_load_dword v65, s[12:15], 0 offen lds               // 00000001ABE0: E0511000 80030041
	s_mul_i32 s60, 4, 0x108                                    // 00000001ABE8: 923CFF84 00000108
	s_add_u32 m0, m0, s60                                      // 00000001ABF0: 807C3C7C
	buffer_load_dword v66, s[12:15], 0 offen lds               // 00000001ABF4: E0511000 80030042
	s_mul_i32 s60, 4, 0x108                                    // 00000001ABFC: 923CFF84 00000108
	s_add_u32 m0, m0, s60                                      // 00000001AC04: 807C3C7C
	buffer_load_dword v67, s[12:15], 0 offen lds               // 00000001AC08: E0511000 80030043
	s_mul_i32 s60, 4, 0x108                                    // 00000001AC10: 923CFF84 00000108
	s_add_u32 m0, m0, s60                                      // 00000001AC18: 807C3C7C
	s_add_u32 s12, s74, s12                                    // 00000001AC1C: 800C0C4A
	s_addc_u32 s13, 0, s13                                     // 00000001AC20: 820D0D80
	buffer_load_dword v64, s[12:15], 0 offen lds               // 00000001AC24: E0511000 80030040
	s_mul_i32 s60, 4, 0x108                                    // 00000001AC2C: 923CFF84 00000108
	s_add_u32 m0, m0, s60                                      // 00000001AC34: 807C3C7C
	buffer_load_dword v65, s[12:15], 0 offen lds               // 00000001AC38: E0511000 80030041
	s_mul_i32 s60, 4, 0x108                                    // 00000001AC40: 923CFF84 00000108
	s_add_u32 m0, m0, s60                                      // 00000001AC48: 807C3C7C
	buffer_load_dword v66, s[12:15], 0 offen lds               // 00000001AC4C: E0511000 80030042
	s_mul_i32 s60, 4, 0x108                                    // 00000001AC54: 923CFF84 00000108
	s_add_u32 m0, m0, s60                                      // 00000001AC5C: 807C3C7C
	buffer_load_dword v67, s[12:15], 0 offen lds               // 00000001AC60: E0511000 80030043
	s_mul_i32 s60, 4, 0x108                                    // 00000001AC68: 923CFF84 00000108
	s_add_u32 m0, m0, s60                                      // 00000001AC70: 807C3C7C
	s_add_u32 s12, s74, s12                                    // 00000001AC74: 800C0C4A
	s_addc_u32 s13, 0, s13                                     // 00000001AC78: 820D0D80
	buffer_load_dword v64, s[12:15], 0 offen lds               // 00000001AC7C: E0511000 80030040
	s_mul_i32 s60, 4, 0x108                                    // 00000001AC84: 923CFF84 00000108
	s_add_u32 m0, m0, s60                                      // 00000001AC8C: 807C3C7C
	buffer_load_dword v65, s[12:15], 0 offen lds               // 00000001AC90: E0511000 80030041
	s_mul_i32 s60, 4, 0x108                                    // 00000001AC98: 923CFF84 00000108
	s_add_u32 m0, m0, s60                                      // 00000001ACA0: 807C3C7C
	buffer_load_dword v66, s[12:15], 0 offen lds               // 00000001ACA4: E0511000 80030042
	s_mul_i32 s60, 4, 0x108                                    // 00000001ACAC: 923CFF84 00000108
	s_add_u32 m0, m0, s60                                      // 00000001ACB4: 807C3C7C
	buffer_load_dword v67, s[12:15], 0 offen lds               // 00000001ACB8: E0511000 80030043
	s_mul_i32 s60, 4, 0x108                                    // 00000001ACC0: 923CFF84 00000108
	s_add_u32 m0, m0, s60                                      // 00000001ACC8: 807C3C7C
	s_add_u32 s12, s74, s12                                    // 00000001ACCC: 800C0C4A
	s_addc_u32 s13, 0, s13                                     // 00000001ACD0: 820D0D80
	v_lshrrev_b32_e32 v64, 4, v0                               // 00000001ACD4: 20800084
	v_lshlrev_b32_e32 v64, 2, v64                              // 00000001ACD8: 24808082
	v_and_b32_e32 v65, 3, v0                                   // 00000001ACDC: 26820083
	v_add_u32_e32 v64, v65, v64                                // 00000001ACE0: 68808141
	v_lshlrev_b32_e32 v59, 2, v64                              // 00000001ACE4: 24768082
	v_mov_b32_e32 v60, v59                                     // 00000001ACE8: 7E78033B
	s_mul_i32 s60, s2, 64                                      // 00000001ACEC: 923CC002
	s_add_u32 s32, s60, s32                                    // 00000001ACF0: 8020203C
	s_addc_u32 s33, 0, s33                                     // 00000001ACF4: 82212180
	s_add_u32 s36, s60, s36                                    // 00000001ACF8: 8024243C
	s_addc_u32 s37, 0, s37                                     // 00000001ACFC: 82252580
	s_mul_i32 s60, s2, s76                                     // 00000001AD00: 923C4C02
	s_mul_i32 s61, s84, s75                                    // 00000001AD04: 923D4B54
	s_add_u32 s60, s60, s61                                    // 00000001AD08: 803C3D3C
	s_add_u32 s8, s60, s8                                      // 00000001AD0C: 8008083C
	s_addc_u32 s9, 0, s9                                       // 00000001AD10: 82090980
	s_mov_b32 s70, 0                                           // 00000001AD14: BEC60080
	s_and_b32 s71, s72, 0xffffff00                             // 00000001AD18: 8647FF48 FFFFFF00
	s_mov_b32 s42, 0xff00ff00                                  // 00000001AD20: BEAA00FF FF00FF00
	s_mov_b32 s43, 0xff00ff00                                  // 00000001AD28: BEAB00FF FF00FF00
	s_mov_b32 s44, 0xf0f0f0f0                                  // 00000001AD30: BEAC00FF F0F0F0F0
	s_mov_b32 s45, 0xf0f0f0f0                                  // 00000001AD38: BEAD00FF F0F0F0F0
	s_mov_b32 s78, 0xff00ff                                    // 00000001AD40: BECE00FF 00FF00FF
	s_mov_b32 s79, 0xff00ff                                    // 00000001AD48: BECF00FF 00FF00FF
	v_mul_i32_i24_e64 v63, 64, s66                             // 00000001AD50: D106003F 000084C0
	v_mov_b32_e32 v54, s68                                     // 00000001AD58: 7E6C0244
	s_mov_b32 s52, 0x7060302                                   // 00000001AD5C: BEB400FF 07060302
	s_mov_b32 s53, 0x400                                       // 00000001AD64: BEB500FF 00000400
	s_mov_b32 s54, 0x40100                                     // 00000001AD6C: BEB600FF 00040100
	s_mov_b32 s55, 0x4020100                                   // 00000001AD74: BEB700FF 04020100
	s_mov_b32 s6, 0x3fb8aa3b                                   // 00000001AD7C: BE8600FF 3FB8AA3B
	v_mov_b32_e32 v11, 0xff800000                              // 00000001AD84: 7E1602FF FF800000
	v_mov_b32_e32 v12, 0xff800000                              // 00000001AD8C: 7E1802FF FF800000
	v_mov_b32_e32 v49, 0                                       // 00000001AD94: 7E620280
	v_mov_b32_e32 v50, 0                                       // 00000001AD98: 7E640280
	v_mov_b32_e32 v51, 0                                       // 00000001AD9C: 7E660280
	v_mov_b32_e32 v52, 0                                       // 00000001ADA0: 7E680280
	v_mov_b32_e32 v38, 0                                       // 00000001ADA4: 7E4C0280
	v_mov_b32_e32 v39, 0                                       // 00000001ADA8: 7E4E0280
	v_mov_b32_e32 v40, 0                                       // 00000001ADAC: 7E500280
	v_mov_b32_e32 v41, 0                                       // 00000001ADB0: 7E520280
	v_mov_b32_e32 v44, 0                                       // 00000001ADB4: 7E580280
	v_mov_b32_e32 v45, 0                                       // 00000001ADB8: 7E5A0280
	v_mov_b32_e32 v46, 0                                       // 00000001ADBC: 7E5C0280
	v_mov_b32_e32 v47, 0                                       // 00000001ADC0: 7E5E0280
	v_add_u32_e32 v1, s56, v1                                  // 00000001ADC4: 68020238
	v_and_b32_e32 v7, 15, v0                                   // 00000001ADC8: 260E008F
	v_lshlrev_b32_e32 v7, 2, v7                                // 00000001ADCC: 240E0E82
	v_lshlrev_b32_e32 v8, 2, v0                                // 00000001ADD0: 24100082
	s_mul_i32 s60, 0x100, s7                                   // 00000001ADD4: 923C07FF 00000100
	v_add_u32_e32 v8, s60, v8                                  // 00000001ADDC: 6810103C
	v_lshrrev_b32_e32 v64, 4, v0                               // 00000001ADE0: 20800084
	v_lshlrev_b32_e32 v65, 6, v64                              // 00000001ADE4: 24828086
	v_and_b32_e32 v64, 15, v0                                  // 00000001ADE8: 2680008F
	v_lshlrev_b32_e32 v64, 1, v64                              // 00000001ADEC: 24808081
	v_add_u32_e32 v65, v64, v65                                // 00000001ADF0: 68828340
	v_lshlrev_b32_e32 v9, 2, v65                               // 00000001ADF4: 24128282
	v_lshrrev_b32_e32 v64, 5, v0                               // 00000001ADF8: 20800085
	v_lshlrev_b32_e32 v65, 5, v64                              // 00000001ADFC: 24828085
	v_and_b32_e32 v64, 31, v0                                  // 00000001AE00: 2680009F
	v_lshrrev_b32_e32 v66, 4, v64                              // 00000001AE04: 20848084
	v_add_u32_e32 v65, v66, v65                                // 00000001AE08: 68828342
	v_and_b32_e32 v64, 15, v0                                  // 00000001AE0C: 2680008F
	v_lshlrev_b32_e32 v64, 1, v64                              // 00000001AE10: 24808081
	v_add_u32_e32 v65, v64, v65                                // 00000001AE14: 68828340
	v_lshlrev_b32_e32 v64, 2, v65                              // 00000001AE18: 24808282
	s_mul_i32 s60, 0x100, s7                                   // 00000001AE1C: 923C07FF 00000100
	v_add_u32_e64 v10, v64, s60                                // 00000001AE24: D134000A 00007940
	v_lshlrev_b32_e32 v5, 4, v0                                // 00000001AE2C: 240A0084
	s_mul_i32 s60, s2, s69                                     // 00000001AE30: 923C4502
	s_add_u32 s16, s60, s16                                    // 00000001AE34: 8010103C
	s_addc_u32 s17, 0, s17                                     // 00000001AE38: 82111180
	v_and_b32_e32 v64, 15, v0                                  // 00000001AE3C: 2680008F
	v_lshlrev_b32_e32 v6, 4, v64                               // 00000001AE40: 240C8084
	s_mul_i32 s61, s2, s69                                     // 00000001AE44: 923D4502
	s_mul_i32 s60, s7, 0x100                                   // 00000001AE48: 923CFF07 00000100
	s_add_u32 s60, s60, s61                                    // 00000001AE50: 803C3D3C
	s_add_u32 s20, s60, s20                                    // 00000001AE54: 8014143C
	s_addc_u32 s21, 0, s21                                     // 00000001AE58: 82151580
	s_waitcnt vmcnt(4)                                         // 00000001AE5C: BF8C0F74
	v_mul_u32_u24_dpp v64, v16, v54 row_newbcast:0 row_mask:0xf bank_mask:0xf// 00000001AE60: 10806CFA FF015010
	v_mul_u32_u24_dpp v65, v16, v54 row_newbcast:4 row_mask:0xf bank_mask:0xf// 00000001AE68: 10826CFA FF015410
	v_mul_u32_u24_dpp v66, v16, v54 row_newbcast:8 row_mask:0xf bank_mask:0xf// 00000001AE70: 10846CFA FF015810
	v_mul_u32_u24_dpp v67, v16, v54 row_newbcast:12 row_mask:0xf bank_mask:0xf// 00000001AE78: 10866CFA FF015C10
	v_add_u32_e32 v22, v64, v5                                 // 00000001AE80: 682C0B40
	v_add_u32_e32 v23, v65, v5                                 // 00000001AE84: 682E0B41
	v_add_u32_e32 v24, v66, v5                                 // 00000001AE88: 68300B42
	v_add_u32_e32 v25, v67, v5                                 // 00000001AE8C: 68320B43
	v_mul_u32_u24_dpp v64, v16, v54 row_newbcast:1 row_mask:0xf bank_mask:0xf// 00000001AE90: 10806CFA FF015110
	v_mul_u32_u24_dpp v65, v16, v54 row_newbcast:5 row_mask:0xf bank_mask:0xf// 00000001AE98: 10826CFA FF015510
	v_mul_u32_u24_dpp v66, v16, v54 row_newbcast:9 row_mask:0xf bank_mask:0xf// 00000001AEA0: 10846CFA FF015910
	v_mul_u32_u24_dpp v67, v16, v54 row_newbcast:13 row_mask:0xf bank_mask:0xf// 00000001AEA8: 10866CFA FF015D10
	v_add_u32_e32 v30, v64, v6                                 // 00000001AEB0: 683C0D40
	v_add_u32_e32 v31, v65, v6                                 // 00000001AEB4: 683E0D41
	v_add_u32_e32 v32, v66, v6                                 // 00000001AEB8: 68400D42
	v_add_u32_e32 v33, v67, v6                                 // 00000001AEBC: 68420D43
	v_mul_u32_u24_dpp v64, v16, v63 quad_perm:[0,0,0,0] row_mask:0xf bank_mask:0xf// 00000001AEC0: 10807EFA FF000010
	v_add_u32_e32 v2, v64, v59                                 // 00000001AEC8: 68047740
	v_mul_u32_u24_dpp v64, v16, v63 quad_perm:[0,0,0,0] row_mask:0xf bank_mask:0xf// 00000001AECC: 10807EFA FF000010
	v_add_u32_e32 v55, v64, v60                                // 00000001AED4: 686E7940
	buffer_load_dword v42, v2, s[32:35], 0 offen               // 00000001AED8: E0501000 80082A02
	buffer_load_dwordx4 a[0:3], v22, s[16:19], 0 offen         // 00000001AEE0: E05C1000 80840016
	buffer_load_dwordx4 a[4:7], v22, s[16:19], 0 offen offset:1024// 00000001AEE8: E05C1400 80840416
	buffer_load_dwordx4 a[8:11], v23, s[16:19], 0 offen        // 00000001AEF0: E05C1000 80840817
	buffer_load_dwordx4 a[12:15], v23, s[16:19], 0 offen offset:1024// 00000001AEF8: E05C1400 80840C17
	buffer_load_dwordx4 a[16:19], v24, s[16:19], 0 offen       // 00000001AF00: E05C1000 80841018
	buffer_load_dwordx4 a[20:23], v24, s[16:19], 0 offen offset:1024// 00000001AF08: E05C1400 80841418
	buffer_load_dwordx4 a[24:27], v25, s[16:19], 0 offen       // 00000001AF10: E05C1000 80841819
	buffer_load_dwordx4 a[28:31], v25, s[16:19], 0 offen offset:1024// 00000001AF18: E05C1400 80841C19
	buffer_load_dword v57, v55, s[36:39], 0 offen              // 00000001AF20: E0501000 80093937
	buffer_load_dwordx4 a[64:67], v30, s[20:23], 0 offen       // 00000001AF28: E05C1000 8085401E
	buffer_load_dwordx4 a[68:71], v31, s[20:23], 0 offen       // 00000001AF30: E05C1000 8085441F
	buffer_load_dwordx4 a[72:75], v32, s[20:23], 0 offen       // 00000001AF38: E05C1000 80854820
	buffer_load_dwordx4 a[76:79], v33, s[20:23], 0 offen       // 00000001AF40: E05C1000 80854C21
	buffer_load_dwordx4 a[80:83], v30, s[20:23], 0 offen offset:1024// 00000001AF48: E05C1400 8085501E
	buffer_load_dwordx4 a[84:87], v31, s[20:23], 0 offen offset:1024// 00000001AF50: E05C1400 8085541F
	buffer_load_dwordx4 a[88:91], v32, s[20:23], 0 offen offset:1024// 00000001AF58: E05C1400 80855820
	buffer_load_dwordx4 a[92:95], v33, s[20:23], 0 offen offset:1024// 00000001AF60: E05C1400 80855C21
	v_lshrrev_b32_e32 v64, 4, v0                               // 00000001AF68: 20800084
	v_lshlrev_b32_e32 v65, 1, v64                              // 00000001AF6C: 24828081
	v_and_b32_e32 v64, 15, v0                                  // 00000001AF70: 2680008F
	v_mul_i32_i24_e32 v64, 0x42, v64                           // 00000001AF74: 0C8080FF 00000042
	v_add_u32_e32 v65, v64, v65                                // 00000001AF7C: 68828340
	v_lshlrev_b32_e32 v4, 2, v65                               // 00000001AF80: 24088282
	s_mul_i32 s60, s7, 32                                      // 00000001AF84: 923CA007
	v_add_u32_e32 v4, s60, v4                                  // 00000001AF88: 6808083C
	s_waitcnt vmcnt(16) lgkmcnt(0)                             // 00000001AF8C: BF8C4070
	s_barrier                                                  // 00000001AF90: BF8A0000
	ds_read_b64 v[80:81], v4                                   // 00000001AF94: D8EC0000 50000004
	ds_read_b64 v[84:85], v4 offset:128                        // 00000001AF9C: D8EC0080 54000004
	s_waitcnt lgkmcnt(0)                                       // 00000001AFA4: BF8CC07F
	v_and_b32_e32 v64, 0xffff, v80                             // 00000001AFA8: 2680A0FF 0000FFFF
	v_lshrrev_b32_e32 v65, 16, v80                             // 00000001AFB0: 2082A090
	v_and_b32_e32 v66, 0xffff, v81                             // 00000001AFB4: 2684A2FF 0000FFFF
	v_lshrrev_b32_e32 v67, 16, v81                             // 00000001AFBC: 2086A290
	v_cvt_f32_f16_e32 v80, v64                                 // 00000001AFC0: 7EA01740
	v_cvt_f32_f16_e32 v81, v65                                 // 00000001AFC4: 7EA21741
	v_cvt_f32_f16_e32 v82, v66                                 // 00000001AFC8: 7EA41742
	v_cvt_f32_f16_e32 v83, v67                                 // 00000001AFCC: 7EA61743
	v_and_b32_e32 v64, 0xffff, v84                             // 00000001AFD0: 2680A8FF 0000FFFF
	v_lshrrev_b32_e32 v65, 16, v84                             // 00000001AFD8: 2082A890
	v_and_b32_e32 v66, 0xffff, v85                             // 00000001AFDC: 2684AAFF 0000FFFF
	v_lshrrev_b32_e32 v67, 16, v85                             // 00000001AFE4: 2086AA90
	v_cvt_f32_f16_e32 v84, v64                                 // 00000001AFE8: 7EA81740
	v_cvt_f32_f16_e32 v85, v65                                 // 00000001AFEC: 7EAA1741
	v_cvt_f32_f16_e32 v86, v66                                 // 00000001AFF0: 7EAC1742
	v_cvt_f32_f16_e32 v87, v67                                 // 00000001AFF4: 7EAE1743
	v_mov_b32_e32 v48, 0x358637bd                              // 00000001AFF8: 7E6002FF 358637BD
	v_max3_f32 v48, |v80|, |v81|, v48                          // 00000001B000: D1D30330 04C2A350
	v_max3_f32 v48, |v82|, |v83|, v48                          // 00000001B008: D1D30330 04C2A752
	v_max3_f32 v48, |v84|, |v85|, v48                          // 00000001B010: D1D30330 04C2AB54
	v_max3_f32 v48, |v86|, |v87|, v48                          // 00000001B018: D1D30330 04C2AF56
	ds_write_b32 v8, v48 offset:16896                          // 00000001B020: D81A4200 00003008
	s_waitcnt lgkmcnt(0)                                       // 00000001B028: BF8CC07F
	s_barrier                                                  // 00000001B02C: BF8A0000
	ds_read_b32 v64, v7 offset:16896                           // 00000001B030: D86C4200 40000007
	ds_read_b32 v65, v7 offset:16960                           // 00000001B038: D86C4240 41000007
	ds_read_b32 v66, v7 offset:17024                           // 00000001B040: D86C4280 42000007
	ds_read_b32 v67, v7 offset:17088                           // 00000001B048: D86C42C0 43000007
	ds_read_b32 v68, v7 offset:17152                           // 00000001B050: D86C4300 44000007
	ds_read_b32 v69, v7 offset:17216                           // 00000001B058: D86C4340 45000007
	ds_read_b32 v70, v7 offset:17280                           // 00000001B060: D86C4380 46000007
	ds_read_b32 v71, v7 offset:17344                           // 00000001B068: D86C43C0 47000007
	ds_read_b32 v72, v7 offset:17408                           // 00000001B070: D86C4400 48000007
	ds_read_b32 v73, v7 offset:17472                           // 00000001B078: D86C4440 49000007
	ds_read_b32 v74, v7 offset:17536                           // 00000001B080: D86C4480 4A000007
	ds_read_b32 v75, v7 offset:17600                           // 00000001B088: D86C44C0 4B000007
	ds_read_b32 v76, v7 offset:17664                           // 00000001B090: D86C4500 4C000007
	ds_read_b32 v77, v7 offset:17728                           // 00000001B098: D86C4540 4D000007
	ds_read_b32 v78, v7 offset:17792                           // 00000001B0A0: D86C4580 4E000007
	ds_read_b32 v79, v7 offset:17856                           // 00000001B0A8: D86C45C0 4F000007
	s_waitcnt lgkmcnt(0)                                       // 00000001B0B0: BF8CC07F
	v_max3_f32 v48, |v64|, |v65|, v48                          // 00000001B0B4: D1D30330 04C28340
	v_max3_f32 v48, |v66|, |v67|, v48                          // 00000001B0BC: D1D30330 04C28742
	v_max3_f32 v48, |v68|, |v69|, v48                          // 00000001B0C4: D1D30330 04C28B44
	v_max3_f32 v48, |v70|, |v71|, v48                          // 00000001B0CC: D1D30330 04C28F46
	v_max3_f32 v48, |v72|, |v73|, v48                          // 00000001B0D4: D1D30330 04C29348
	v_max3_f32 v48, |v74|, |v75|, v48                          // 00000001B0DC: D1D30330 04C2974A
	v_max3_f32 v48, |v76|, |v77|, v48                          // 00000001B0E4: D1D30330 04C29B4C
	v_max3_f32 v48, |v78|, |v79|, v48                          // 00000001B0EC: D1D30330 04C29F4E
	v_rcp_f32_e32 v48, v48                                     // 00000001B0F4: 7E604530
	s_nop 1                                                    // 00000001B0F8: BF800001
	v_mul_f32_e32 v48, 0x42fe0000, v48                         // 00000001B0FC: 0A6060FF 42FE0000
	v_mul_f32_e32 v80, v48, v80                                // 00000001B104: 0AA0A130
	v_mul_f32_e32 v81, v48, v81                                // 00000001B108: 0AA2A330
	v_mul_f32_e32 v82, v48, v82                                // 00000001B10C: 0AA4A530
	v_mul_f32_e32 v83, v48, v83                                // 00000001B110: 0AA6A730
	v_mul_f32_e32 v84, v48, v84                                // 00000001B114: 0AA8A930
	v_mul_f32_e32 v85, v48, v85                                // 00000001B118: 0AAAAB30
	v_mul_f32_e32 v86, v48, v86                                // 00000001B11C: 0AACAD30
	v_mul_f32_e32 v87, v48, v87                                // 00000001B120: 0AAEAF30
	v_cvt_i32_f32_e32 v80, v80                                 // 00000001B124: 7EA01150
	v_cvt_i32_f32_e32 v81, v81                                 // 00000001B128: 7EA21151
	v_cvt_i32_f32_e32 v82, v82                                 // 00000001B12C: 7EA41152
	v_cvt_i32_f32_e32 v83, v83                                 // 00000001B130: 7EA61153
	v_cvt_i32_f32_e32 v84, v84                                 // 00000001B134: 7EA81154
	v_cvt_i32_f32_e32 v85, v85                                 // 00000001B138: 7EAA1155
	v_cvt_i32_f32_e32 v86, v86                                 // 00000001B13C: 7EAC1156
	v_cvt_i32_f32_e32 v87, v87                                 // 00000001B140: 7EAE1157
	v_rcp_f32_e32 v18, v48                                     // 00000001B144: 7E244530
	v_perm_b32 v80, v81, v80, s53                              // 00000001B148: D1ED0050 00D6A151
	v_perm_b32 v80, v82, v80, s54                              // 00000001B150: D1ED0050 00DAA152
	v_perm_b32 v80, v83, v80, s55                              // 00000001B158: D1ED0050 00DEA153
	v_perm_b32 v81, v85, v84, s53                              // 00000001B160: D1ED0051 00D6A955
	v_perm_b32 v81, v86, v81, s54                              // 00000001B168: D1ED0051 00DAA356
	v_perm_b32 v81, v87, v81, s55                              // 00000001B170: D1ED0051 00DEA357
	ds_write_b32 v10, v80 offset:25088                         // 00000001B178: D81A6200 0000500A
	ds_write_b32 v10, v81 offset:26112                         // 00000001B180: D81A6600 0000510A
	s_waitcnt lgkmcnt(0)                                       // 00000001B188: BF8CC07F
	s_barrier                                                  // 00000001B18C: BF8A0000
	ds_read_b64 v[80:81], v9 offset:25088                      // 00000001B190: D8EC6200 50000009
	ds_read_b64 v[82:83], v9 offset:25216                      // 00000001B198: D8EC6280 52000009
	ds_read_b64 v[84:85], v9 offset:26112                      // 00000001B1A0: D8EC6600 54000009
	ds_read_b64 v[86:87], v9 offset:26240                      // 00000001B1A8: D8EC6680 56000009
	v_mov_b32_e32 v208, 0                                      // 00000001B1B0: 7FA00280
	v_mov_b32_e32 v209, 0                                      // 00000001B1B4: 7FA20280
	v_mov_b32_e32 v210, 0                                      // 00000001B1B8: 7FA40280
	v_mov_b32_e32 v211, 0                                      // 00000001B1BC: 7FA60280
	v_mov_b32_e32 v212, 0                                      // 00000001B1C0: 7FA80280
	v_mov_b32_e32 v213, 0                                      // 00000001B1C4: 7FAA0280
	v_mov_b32_e32 v214, 0                                      // 00000001B1C8: 7FAC0280
	v_mov_b32_e32 v215, 0                                      // 00000001B1CC: 7FAE0280
	v_mov_b32_e32 v176, 0                                      // 00000001B1D0: 7F600280
	v_mov_b32_e32 v177, 0                                      // 00000001B1D4: 7F620280
	v_mov_b32_e32 v178, 0                                      // 00000001B1D8: 7F640280
	v_mov_b32_e32 v179, 0                                      // 00000001B1DC: 7F660280
	v_mov_b32_e32 v180, 0                                      // 00000001B1E0: 7F680280
	v_mov_b32_e32 v181, 0                                      // 00000001B1E4: 7F6A0280
	v_mov_b32_e32 v182, 0                                      // 00000001B1E8: 7F6C0280
	v_mov_b32_e32 v183, 0                                      // 00000001B1EC: 7F6E0280
	ds_read_b64 v[88:89], v4 offset:4224                       // 00000001B1F0: D8EC1080 58000004
	ds_read_b64 v[92:93], v4 offset:4352                       // 00000001B1F8: D8EC1100 5C000004
	s_waitcnt lgkmcnt(0)                                       // 00000001B200: BF8CC07F
	v_and_b32_e32 v64, 0xffff, v88                             // 00000001B204: 2680B0FF 0000FFFF
	v_lshrrev_b32_e32 v65, 16, v88                             // 00000001B20C: 2082B090
	v_and_b32_e32 v66, 0xffff, v89                             // 00000001B210: 2684B2FF 0000FFFF
	v_lshrrev_b32_e32 v67, 16, v89                             // 00000001B218: 2086B290
	v_cvt_f32_f16_e32 v88, v64                                 // 00000001B21C: 7EB01740
	v_cvt_f32_f16_e32 v89, v65                                 // 00000001B220: 7EB21741
	v_cvt_f32_f16_e32 v90, v66                                 // 00000001B224: 7EB41742
	v_cvt_f32_f16_e32 v91, v67                                 // 00000001B228: 7EB61743
	v_and_b32_e32 v64, 0xffff, v92                             // 00000001B22C: 2680B8FF 0000FFFF
	v_lshrrev_b32_e32 v65, 16, v92                             // 00000001B234: 2082B890
	v_and_b32_e32 v66, 0xffff, v93                             // 00000001B238: 2684BAFF 0000FFFF
	v_lshrrev_b32_e32 v67, 16, v93                             // 00000001B240: 2086BA90
	v_cvt_f32_f16_e32 v92, v64                                 // 00000001B244: 7EB81740
	v_cvt_f32_f16_e32 v93, v65                                 // 00000001B248: 7EBA1741
	v_cvt_f32_f16_e32 v94, v66                                 // 00000001B24C: 7EBC1742
	v_cvt_f32_f16_e32 v95, v67                                 // 00000001B250: 7EBE1743
	v_mov_b32_e32 v48, 0x358637bd                              // 00000001B254: 7E6002FF 358637BD
	v_max3_f32 v48, |v88|, |v89|, v48                          // 00000001B25C: D1D30330 04C2B358
	v_max3_f32 v48, |v90|, |v91|, v48                          // 00000001B264: D1D30330 04C2B75A
	v_max3_f32 v48, |v92|, |v93|, v48                          // 00000001B26C: D1D30330 04C2BB5C
	v_max3_f32 v48, |v94|, |v95|, v48                          // 00000001B274: D1D30330 04C2BF5E
	ds_write_b32 v8, v48 offset:16896                          // 00000001B27C: D81A4200 00003008
	s_waitcnt lgkmcnt(0)                                       // 00000001B284: BF8CC07F
	s_barrier                                                  // 00000001B288: BF8A0000
	ds_read_b32 v64, v7 offset:16896                           // 00000001B28C: D86C4200 40000007
	ds_read_b32 v65, v7 offset:16960                           // 00000001B294: D86C4240 41000007
	ds_read_b32 v66, v7 offset:17024                           // 00000001B29C: D86C4280 42000007
	ds_read_b32 v67, v7 offset:17088                           // 00000001B2A4: D86C42C0 43000007
	ds_read_b32 v68, v7 offset:17152                           // 00000001B2AC: D86C4300 44000007
	ds_read_b32 v69, v7 offset:17216                           // 00000001B2B4: D86C4340 45000007
	ds_read_b32 v70, v7 offset:17280                           // 00000001B2BC: D86C4380 46000007
	ds_read_b32 v71, v7 offset:17344                           // 00000001B2C4: D86C43C0 47000007
	ds_read_b32 v72, v7 offset:17408                           // 00000001B2CC: D86C4400 48000007
	ds_read_b32 v73, v7 offset:17472                           // 00000001B2D4: D86C4440 49000007
	ds_read_b32 v74, v7 offset:17536                           // 00000001B2DC: D86C4480 4A000007
	ds_read_b32 v75, v7 offset:17600                           // 00000001B2E4: D86C44C0 4B000007
	ds_read_b32 v76, v7 offset:17664                           // 00000001B2EC: D86C4500 4C000007
	ds_read_b32 v77, v7 offset:17728                           // 00000001B2F4: D86C4540 4D000007
	ds_read_b32 v78, v7 offset:17792                           // 00000001B2FC: D86C4580 4E000007
	ds_read_b32 v79, v7 offset:17856                           // 00000001B304: D86C45C0 4F000007
	s_waitcnt lgkmcnt(0)                                       // 00000001B30C: BF8CC07F
	v_max3_f32 v48, |v64|, |v65|, v48                          // 00000001B310: D1D30330 04C28340
	v_max3_f32 v48, |v66|, |v67|, v48                          // 00000001B318: D1D30330 04C28742
	v_max3_f32 v48, |v68|, |v69|, v48                          // 00000001B320: D1D30330 04C28B44
	v_max3_f32 v48, |v70|, |v71|, v48                          // 00000001B328: D1D30330 04C28F46
	v_max3_f32 v48, |v72|, |v73|, v48                          // 00000001B330: D1D30330 04C29348
	v_max3_f32 v48, |v74|, |v75|, v48                          // 00000001B338: D1D30330 04C2974A
	v_max3_f32 v48, |v76|, |v77|, v48                          // 00000001B340: D1D30330 04C29B4C
	v_max3_f32 v48, |v78|, |v79|, v48                          // 00000001B348: D1D30330 04C29F4E
	v_rcp_f32_e32 v48, v48                                     // 00000001B350: 7E604530
	s_nop 1                                                    // 00000001B354: BF800001
	v_mul_f32_e32 v48, 0x42fe0000, v48                         // 00000001B358: 0A6060FF 42FE0000
	v_mul_f32_e32 v88, v48, v88                                // 00000001B360: 0AB0B130
	v_mul_f32_e32 v89, v48, v89                                // 00000001B364: 0AB2B330
	v_mul_f32_e32 v90, v48, v90                                // 00000001B368: 0AB4B530
	v_mul_f32_e32 v91, v48, v91                                // 00000001B36C: 0AB6B730
	v_mul_f32_e32 v92, v48, v92                                // 00000001B370: 0AB8B930
	v_mul_f32_e32 v93, v48, v93                                // 00000001B374: 0ABABB30
	v_mul_f32_e32 v94, v48, v94                                // 00000001B378: 0ABCBD30
	v_mul_f32_e32 v95, v48, v95                                // 00000001B37C: 0ABEBF30
	v_cvt_i32_f32_e32 v88, v88                                 // 00000001B380: 7EB01158
	v_cvt_i32_f32_e32 v89, v89                                 // 00000001B384: 7EB21159
	v_cvt_i32_f32_e32 v90, v90                                 // 00000001B388: 7EB4115A
	v_cvt_i32_f32_e32 v91, v91                                 // 00000001B38C: 7EB6115B
	v_cvt_i32_f32_e32 v92, v92                                 // 00000001B390: 7EB8115C
	v_cvt_i32_f32_e32 v93, v93                                 // 00000001B394: 7EBA115D
	v_cvt_i32_f32_e32 v94, v94                                 // 00000001B398: 7EBC115E
	v_cvt_i32_f32_e32 v95, v95                                 // 00000001B39C: 7EBE115F
	v_rcp_f32_e32 v19, v48                                     // 00000001B3A0: 7E264530
	v_perm_b32 v88, v89, v88, s53                              // 00000001B3A4: D1ED0058 00D6B159
	v_perm_b32 v88, v90, v88, s54                              // 00000001B3AC: D1ED0058 00DAB15A
	v_perm_b32 v88, v91, v88, s55                              // 00000001B3B4: D1ED0058 00DEB15B
	v_perm_b32 v89, v93, v92, s53                              // 00000001B3BC: D1ED0059 00D6B95D
	v_perm_b32 v89, v94, v89, s54                              // 00000001B3C4: D1ED0059 00DAB35E
	v_perm_b32 v89, v95, v89, s55                              // 00000001B3CC: D1ED0059 00DEB35F
	ds_write_b32 v10, v88 offset:25088                         // 00000001B3D4: D81A6200 0000580A
	ds_write_b32 v10, v89 offset:26112                         // 00000001B3DC: D81A6600 0000590A
	s_waitcnt lgkmcnt(0)                                       // 00000001B3E4: BF8CC07F
	s_barrier                                                  // 00000001B3E8: BF8A0000
	ds_read_b64 v[88:89], v9 offset:25088                      // 00000001B3EC: D8EC6200 58000009
	ds_read_b64 v[90:91], v9 offset:25216                      // 00000001B3F4: D8EC6280 5A000009
	ds_read_b64 v[92:93], v9 offset:26112                      // 00000001B3FC: D8EC6600 5C000009
	ds_read_b64 v[94:95], v9 offset:26240                      // 00000001B404: D8EC6680 5E000009
	v_mov_b32_e32 v216, 0                                      // 00000001B40C: 7FB00280
	v_mov_b32_e32 v217, 0                                      // 00000001B410: 7FB20280
	v_mov_b32_e32 v218, 0                                      // 00000001B414: 7FB40280
	v_mov_b32_e32 v219, 0                                      // 00000001B418: 7FB60280
	v_mov_b32_e32 v220, 0                                      // 00000001B41C: 7FB80280
	v_mov_b32_e32 v221, 0                                      // 00000001B420: 7FBA0280
	v_mov_b32_e32 v222, 0                                      // 00000001B424: 7FBC0280
	v_mov_b32_e32 v223, 0                                      // 00000001B428: 7FBE0280
	v_mov_b32_e32 v184, 0                                      // 00000001B42C: 7F700280
	v_mov_b32_e32 v185, 0                                      // 00000001B430: 7F720280
	v_mov_b32_e32 v186, 0                                      // 00000001B434: 7F740280
	v_mov_b32_e32 v187, 0                                      // 00000001B438: 7F760280
	v_mov_b32_e32 v188, 0                                      // 00000001B43C: 7F780280
	v_mov_b32_e32 v189, 0                                      // 00000001B440: 7F7A0280
	v_mov_b32_e32 v190, 0                                      // 00000001B444: 7F7C0280
	v_mov_b32_e32 v191, 0                                      // 00000001B448: 7F7E0280
	ds_read_b64 v[96:97], v4 offset:8448                       // 00000001B44C: D8EC2100 60000004
	ds_read_b64 v[100:101], v4 offset:8576                     // 00000001B454: D8EC2180 64000004
	s_waitcnt lgkmcnt(0)                                       // 00000001B45C: BF8CC07F
	v_and_b32_e32 v64, 0xffff, v96                             // 00000001B460: 2680C0FF 0000FFFF
	v_lshrrev_b32_e32 v65, 16, v96                             // 00000001B468: 2082C090
	v_and_b32_e32 v66, 0xffff, v97                             // 00000001B46C: 2684C2FF 0000FFFF
	v_lshrrev_b32_e32 v67, 16, v97                             // 00000001B474: 2086C290
	v_cvt_f32_f16_e32 v96, v64                                 // 00000001B478: 7EC01740
	v_cvt_f32_f16_e32 v97, v65                                 // 00000001B47C: 7EC21741
	v_cvt_f32_f16_e32 v98, v66                                 // 00000001B480: 7EC41742
	v_cvt_f32_f16_e32 v99, v67                                 // 00000001B484: 7EC61743
	v_and_b32_e32 v64, 0xffff, v100                            // 00000001B488: 2680C8FF 0000FFFF
	v_lshrrev_b32_e32 v65, 16, v100                            // 00000001B490: 2082C890
	v_and_b32_e32 v66, 0xffff, v101                            // 00000001B494: 2684CAFF 0000FFFF
	v_lshrrev_b32_e32 v67, 16, v101                            // 00000001B49C: 2086CA90
	v_cvt_f32_f16_e32 v100, v64                                // 00000001B4A0: 7EC81740
	v_cvt_f32_f16_e32 v101, v65                                // 00000001B4A4: 7ECA1741
	v_cvt_f32_f16_e32 v102, v66                                // 00000001B4A8: 7ECC1742
	v_cvt_f32_f16_e32 v103, v67                                // 00000001B4AC: 7ECE1743
	v_mov_b32_e32 v48, 0x358637bd                              // 00000001B4B0: 7E6002FF 358637BD
	v_max3_f32 v48, |v96|, |v97|, v48                          // 00000001B4B8: D1D30330 04C2C360
	v_max3_f32 v48, |v98|, |v99|, v48                          // 00000001B4C0: D1D30330 04C2C762
	v_max3_f32 v48, |v100|, |v101|, v48                        // 00000001B4C8: D1D30330 04C2CB64
	v_max3_f32 v48, |v102|, |v103|, v48                        // 00000001B4D0: D1D30330 04C2CF66
	ds_write_b32 v8, v48 offset:16896                          // 00000001B4D8: D81A4200 00003008
	s_waitcnt lgkmcnt(0)                                       // 00000001B4E0: BF8CC07F
	s_barrier                                                  // 00000001B4E4: BF8A0000
	ds_read_b32 v64, v7 offset:16896                           // 00000001B4E8: D86C4200 40000007
	ds_read_b32 v65, v7 offset:16960                           // 00000001B4F0: D86C4240 41000007
	ds_read_b32 v66, v7 offset:17024                           // 00000001B4F8: D86C4280 42000007
	ds_read_b32 v67, v7 offset:17088                           // 00000001B500: D86C42C0 43000007
	ds_read_b32 v68, v7 offset:17152                           // 00000001B508: D86C4300 44000007
	ds_read_b32 v69, v7 offset:17216                           // 00000001B510: D86C4340 45000007
	ds_read_b32 v70, v7 offset:17280                           // 00000001B518: D86C4380 46000007
	ds_read_b32 v71, v7 offset:17344                           // 00000001B520: D86C43C0 47000007
	ds_read_b32 v72, v7 offset:17408                           // 00000001B528: D86C4400 48000007
	ds_read_b32 v73, v7 offset:17472                           // 00000001B530: D86C4440 49000007
	ds_read_b32 v74, v7 offset:17536                           // 00000001B538: D86C4480 4A000007
	ds_read_b32 v75, v7 offset:17600                           // 00000001B540: D86C44C0 4B000007
	ds_read_b32 v76, v7 offset:17664                           // 00000001B548: D86C4500 4C000007
	ds_read_b32 v77, v7 offset:17728                           // 00000001B550: D86C4540 4D000007
	ds_read_b32 v78, v7 offset:17792                           // 00000001B558: D86C4580 4E000007
	ds_read_b32 v79, v7 offset:17856                           // 00000001B560: D86C45C0 4F000007
	s_waitcnt lgkmcnt(0)                                       // 00000001B568: BF8CC07F
	v_max3_f32 v48, |v64|, |v65|, v48                          // 00000001B56C: D1D30330 04C28340
	v_max3_f32 v48, |v66|, |v67|, v48                          // 00000001B574: D1D30330 04C28742
	v_max3_f32 v48, |v68|, |v69|, v48                          // 00000001B57C: D1D30330 04C28B44
	v_max3_f32 v48, |v70|, |v71|, v48                          // 00000001B584: D1D30330 04C28F46
	v_max3_f32 v48, |v72|, |v73|, v48                          // 00000001B58C: D1D30330 04C29348
	v_max3_f32 v48, |v74|, |v75|, v48                          // 00000001B594: D1D30330 04C2974A
	v_max3_f32 v48, |v76|, |v77|, v48                          // 00000001B59C: D1D30330 04C29B4C
	v_max3_f32 v48, |v78|, |v79|, v48                          // 00000001B5A4: D1D30330 04C29F4E
	v_rcp_f32_e32 v48, v48                                     // 00000001B5AC: 7E604530
	s_nop 1                                                    // 00000001B5B0: BF800001
	v_mul_f32_e32 v48, 0x42fe0000, v48                         // 00000001B5B4: 0A6060FF 42FE0000
	v_mul_f32_e32 v96, v48, v96                                // 00000001B5BC: 0AC0C130
	v_mul_f32_e32 v97, v48, v97                                // 00000001B5C0: 0AC2C330
	v_mul_f32_e32 v98, v48, v98                                // 00000001B5C4: 0AC4C530
	v_mul_f32_e32 v99, v48, v99                                // 00000001B5C8: 0AC6C730
	v_mul_f32_e32 v100, v48, v100                              // 00000001B5CC: 0AC8C930
	v_mul_f32_e32 v101, v48, v101                              // 00000001B5D0: 0ACACB30
	v_mul_f32_e32 v102, v48, v102                              // 00000001B5D4: 0ACCCD30
	v_mul_f32_e32 v103, v48, v103                              // 00000001B5D8: 0ACECF30
	v_cvt_i32_f32_e32 v96, v96                                 // 00000001B5DC: 7EC01160
	v_cvt_i32_f32_e32 v97, v97                                 // 00000001B5E0: 7EC21161
	v_cvt_i32_f32_e32 v98, v98                                 // 00000001B5E4: 7EC41162
	v_cvt_i32_f32_e32 v99, v99                                 // 00000001B5E8: 7EC61163
	v_cvt_i32_f32_e32 v100, v100                               // 00000001B5EC: 7EC81164
	v_cvt_i32_f32_e32 v101, v101                               // 00000001B5F0: 7ECA1165
	v_cvt_i32_f32_e32 v102, v102                               // 00000001B5F4: 7ECC1166
	v_cvt_i32_f32_e32 v103, v103                               // 00000001B5F8: 7ECE1167
	v_rcp_f32_e32 v20, v48                                     // 00000001B5FC: 7E284530
	v_perm_b32 v96, v97, v96, s53                              // 00000001B600: D1ED0060 00D6C161
	v_perm_b32 v96, v98, v96, s54                              // 00000001B608: D1ED0060 00DAC162
	v_perm_b32 v96, v99, v96, s55                              // 00000001B610: D1ED0060 00DEC163
	v_perm_b32 v97, v101, v100, s53                            // 00000001B618: D1ED0061 00D6C965
	v_perm_b32 v97, v102, v97, s54                             // 00000001B620: D1ED0061 00DAC366
	v_perm_b32 v97, v103, v97, s55                             // 00000001B628: D1ED0061 00DEC367
	ds_write_b32 v10, v96 offset:25088                         // 00000001B630: D81A6200 0000600A
	ds_write_b32 v10, v97 offset:26112                         // 00000001B638: D81A6600 0000610A
	s_waitcnt lgkmcnt(0)                                       // 00000001B640: BF8CC07F
	s_barrier                                                  // 00000001B644: BF8A0000
	ds_read_b64 v[96:97], v9 offset:25088                      // 00000001B648: D8EC6200 60000009
	ds_read_b64 v[98:99], v9 offset:25216                      // 00000001B650: D8EC6280 62000009
	ds_read_b64 v[100:101], v9 offset:26112                    // 00000001B658: D8EC6600 64000009
	ds_read_b64 v[102:103], v9 offset:26240                    // 00000001B660: D8EC6680 66000009
	v_mov_b32_e32 v224, 0                                      // 00000001B668: 7FC00280
	v_mov_b32_e32 v225, 0                                      // 00000001B66C: 7FC20280
	v_mov_b32_e32 v226, 0                                      // 00000001B670: 7FC40280
	v_mov_b32_e32 v227, 0                                      // 00000001B674: 7FC60280
	v_mov_b32_e32 v228, 0                                      // 00000001B678: 7FC80280
	v_mov_b32_e32 v229, 0                                      // 00000001B67C: 7FCA0280
	v_mov_b32_e32 v230, 0                                      // 00000001B680: 7FCC0280
	v_mov_b32_e32 v231, 0                                      // 00000001B684: 7FCE0280
	v_mov_b32_e32 v192, 0                                      // 00000001B688: 7F800280
	v_mov_b32_e32 v193, 0                                      // 00000001B68C: 7F820280
	v_mov_b32_e32 v194, 0                                      // 00000001B690: 7F840280
	v_mov_b32_e32 v195, 0                                      // 00000001B694: 7F860280
	v_mov_b32_e32 v196, 0                                      // 00000001B698: 7F880280
	v_mov_b32_e32 v197, 0                                      // 00000001B69C: 7F8A0280
	v_mov_b32_e32 v198, 0                                      // 00000001B6A0: 7F8C0280
	v_mov_b32_e32 v199, 0                                      // 00000001B6A4: 7F8E0280
	ds_read_b64 v[104:105], v4 offset:12672                    // 00000001B6A8: D8EC3180 68000004
	ds_read_b64 v[108:109], v4 offset:12800                    // 00000001B6B0: D8EC3200 6C000004
	s_waitcnt lgkmcnt(0)                                       // 00000001B6B8: BF8CC07F
	v_and_b32_e32 v64, 0xffff, v104                            // 00000001B6BC: 2680D0FF 0000FFFF
	v_lshrrev_b32_e32 v65, 16, v104                            // 00000001B6C4: 2082D090
	v_and_b32_e32 v66, 0xffff, v105                            // 00000001B6C8: 2684D2FF 0000FFFF
	v_lshrrev_b32_e32 v67, 16, v105                            // 00000001B6D0: 2086D290
	v_cvt_f32_f16_e32 v104, v64                                // 00000001B6D4: 7ED01740
	v_cvt_f32_f16_e32 v105, v65                                // 00000001B6D8: 7ED21741
	v_cvt_f32_f16_e32 v106, v66                                // 00000001B6DC: 7ED41742
	v_cvt_f32_f16_e32 v107, v67                                // 00000001B6E0: 7ED61743
	v_and_b32_e32 v64, 0xffff, v108                            // 00000001B6E4: 2680D8FF 0000FFFF
	v_lshrrev_b32_e32 v65, 16, v108                            // 00000001B6EC: 2082D890
	v_and_b32_e32 v66, 0xffff, v109                            // 00000001B6F0: 2684DAFF 0000FFFF
	v_lshrrev_b32_e32 v67, 16, v109                            // 00000001B6F8: 2086DA90
	v_cvt_f32_f16_e32 v108, v64                                // 00000001B6FC: 7ED81740
	v_cvt_f32_f16_e32 v109, v65                                // 00000001B700: 7EDA1741
	v_cvt_f32_f16_e32 v110, v66                                // 00000001B704: 7EDC1742
	v_cvt_f32_f16_e32 v111, v67                                // 00000001B708: 7EDE1743
	v_mov_b32_e32 v48, 0x358637bd                              // 00000001B70C: 7E6002FF 358637BD
	v_max3_f32 v48, |v104|, |v105|, v48                        // 00000001B714: D1D30330 04C2D368
	v_max3_f32 v48, |v106|, |v107|, v48                        // 00000001B71C: D1D30330 04C2D76A
	v_max3_f32 v48, |v108|, |v109|, v48                        // 00000001B724: D1D30330 04C2DB6C
	v_max3_f32 v48, |v110|, |v111|, v48                        // 00000001B72C: D1D30330 04C2DF6E
	ds_write_b32 v8, v48 offset:16896                          // 00000001B734: D81A4200 00003008
	s_waitcnt lgkmcnt(0)                                       // 00000001B73C: BF8CC07F
	s_barrier                                                  // 00000001B740: BF8A0000
	ds_read_b32 v64, v7 offset:16896                           // 00000001B744: D86C4200 40000007
	ds_read_b32 v65, v7 offset:16960                           // 00000001B74C: D86C4240 41000007
	ds_read_b32 v66, v7 offset:17024                           // 00000001B754: D86C4280 42000007
	ds_read_b32 v67, v7 offset:17088                           // 00000001B75C: D86C42C0 43000007
	ds_read_b32 v68, v7 offset:17152                           // 00000001B764: D86C4300 44000007
	ds_read_b32 v69, v7 offset:17216                           // 00000001B76C: D86C4340 45000007
	ds_read_b32 v70, v7 offset:17280                           // 00000001B774: D86C4380 46000007
	ds_read_b32 v71, v7 offset:17344                           // 00000001B77C: D86C43C0 47000007
	ds_read_b32 v72, v7 offset:17408                           // 00000001B784: D86C4400 48000007
	ds_read_b32 v73, v7 offset:17472                           // 00000001B78C: D86C4440 49000007
	ds_read_b32 v74, v7 offset:17536                           // 00000001B794: D86C4480 4A000007
	ds_read_b32 v75, v7 offset:17600                           // 00000001B79C: D86C44C0 4B000007
	ds_read_b32 v76, v7 offset:17664                           // 00000001B7A4: D86C4500 4C000007
	ds_read_b32 v77, v7 offset:17728                           // 00000001B7AC: D86C4540 4D000007
	ds_read_b32 v78, v7 offset:17792                           // 00000001B7B4: D86C4580 4E000007
	ds_read_b32 v79, v7 offset:17856                           // 00000001B7BC: D86C45C0 4F000007
	s_waitcnt lgkmcnt(0)                                       // 00000001B7C4: BF8CC07F
	v_max3_f32 v48, |v64|, |v65|, v48                          // 00000001B7C8: D1D30330 04C28340
	v_max3_f32 v48, |v66|, |v67|, v48                          // 00000001B7D0: D1D30330 04C28742
	v_max3_f32 v48, |v68|, |v69|, v48                          // 00000001B7D8: D1D30330 04C28B44
	v_max3_f32 v48, |v70|, |v71|, v48                          // 00000001B7E0: D1D30330 04C28F46
	v_max3_f32 v48, |v72|, |v73|, v48                          // 00000001B7E8: D1D30330 04C29348
	v_max3_f32 v48, |v74|, |v75|, v48                          // 00000001B7F0: D1D30330 04C2974A
	v_max3_f32 v48, |v76|, |v77|, v48                          // 00000001B7F8: D1D30330 04C29B4C
	v_max3_f32 v48, |v78|, |v79|, v48                          // 00000001B800: D1D30330 04C29F4E
	v_rcp_f32_e32 v48, v48                                     // 00000001B808: 7E604530
	s_nop 1                                                    // 00000001B80C: BF800001
	v_mul_f32_e32 v48, 0x42fe0000, v48                         // 00000001B810: 0A6060FF 42FE0000
	v_mul_f32_e32 v104, v48, v104                              // 00000001B818: 0AD0D130
	v_mul_f32_e32 v105, v48, v105                              // 00000001B81C: 0AD2D330
	v_mul_f32_e32 v106, v48, v106                              // 00000001B820: 0AD4D530
	v_mul_f32_e32 v107, v48, v107                              // 00000001B824: 0AD6D730
	v_mul_f32_e32 v108, v48, v108                              // 00000001B828: 0AD8D930
	v_mul_f32_e32 v109, v48, v109                              // 00000001B82C: 0ADADB30
	v_mul_f32_e32 v110, v48, v110                              // 00000001B830: 0ADCDD30
	v_mul_f32_e32 v111, v48, v111                              // 00000001B834: 0ADEDF30
	v_cvt_i32_f32_e32 v104, v104                               // 00000001B838: 7ED01168
	v_cvt_i32_f32_e32 v105, v105                               // 00000001B83C: 7ED21169
	v_cvt_i32_f32_e32 v106, v106                               // 00000001B840: 7ED4116A
	v_cvt_i32_f32_e32 v107, v107                               // 00000001B844: 7ED6116B
	v_cvt_i32_f32_e32 v108, v108                               // 00000001B848: 7ED8116C
	v_cvt_i32_f32_e32 v109, v109                               // 00000001B84C: 7EDA116D
	v_cvt_i32_f32_e32 v110, v110                               // 00000001B850: 7EDC116E
	v_cvt_i32_f32_e32 v111, v111                               // 00000001B854: 7EDE116F
	v_rcp_f32_e32 v21, v48                                     // 00000001B858: 7E2A4530
	v_perm_b32 v104, v105, v104, s53                           // 00000001B85C: D1ED0068 00D6D169
	v_perm_b32 v104, v106, v104, s54                           // 00000001B864: D1ED0068 00DAD16A
	v_perm_b32 v104, v107, v104, s55                           // 00000001B86C: D1ED0068 00DED16B
	v_perm_b32 v105, v109, v108, s53                           // 00000001B874: D1ED0069 00D6D96D
	v_perm_b32 v105, v110, v105, s54                           // 00000001B87C: D1ED0069 00DAD36E
	v_perm_b32 v105, v111, v105, s55                           // 00000001B884: D1ED0069 00DED36F
	ds_write_b32 v10, v104 offset:25088                        // 00000001B88C: D81A6200 0000680A
	ds_write_b32 v10, v105 offset:26112                        // 00000001B894: D81A6600 0000690A
	s_waitcnt lgkmcnt(0)                                       // 00000001B89C: BF8CC07F
	s_barrier                                                  // 00000001B8A0: BF8A0000
	ds_read_b64 v[104:105], v9 offset:25088                    // 00000001B8A4: D8EC6200 68000009
	ds_read_b64 v[106:107], v9 offset:25216                    // 00000001B8AC: D8EC6280 6A000009
	ds_read_b64 v[108:109], v9 offset:26112                    // 00000001B8B4: D8EC6600 6C000009
	ds_read_b64 v[110:111], v9 offset:26240                    // 00000001B8BC: D8EC6680 6E000009
	v_mov_b32_e32 v232, 0                                      // 00000001B8C4: 7FD00280
	v_mov_b32_e32 v233, 0                                      // 00000001B8C8: 7FD20280
	v_mov_b32_e32 v234, 0                                      // 00000001B8CC: 7FD40280
	v_mov_b32_e32 v235, 0                                      // 00000001B8D0: 7FD60280
	v_mov_b32_e32 v236, 0                                      // 00000001B8D4: 7FD80280
	v_mov_b32_e32 v237, 0                                      // 00000001B8D8: 7FDA0280
	v_mov_b32_e32 v238, 0                                      // 00000001B8DC: 7FDC0280
	v_mov_b32_e32 v239, 0                                      // 00000001B8E0: 7FDE0280
	v_mov_b32_e32 v200, 0                                      // 00000001B8E4: 7F900280
	v_mov_b32_e32 v201, 0                                      // 00000001B8E8: 7F920280
	v_mov_b32_e32 v202, 0                                      // 00000001B8EC: 7F940280
	v_mov_b32_e32 v203, 0                                      // 00000001B8F0: 7F960280
	v_mov_b32_e32 v204, 0                                      // 00000001B8F4: 7F980280
	v_mov_b32_e32 v205, 0                                      // 00000001B8F8: 7F9A0280
	v_mov_b32_e32 v206, 0                                      // 00000001B8FC: 7F9C0280
	v_mov_b32_e32 v207, 0                                      // 00000001B900: 7F9E0280
	s_waitcnt vmcnt(8) lgkmcnt(0)                              // 00000001B904: BF8C0078
	s_barrier                                                  // 00000001B908: BF8A0000
	s_cmp_lt_u32 s73, 16                                       // 00000001B90C: BF0A9049
	s_cbranch_scc1 label_8984                                  // 00000001B910: BF8523BF
	s_cmp_lt_i32 s7, 2                                         // 00000001B914: BF048207
	s_cbranch_scc0 label_77A7                                  // 00000001B918: BF8411E0

000000000001b91c <label_65C7>:
	s_waitcnt vmcnt(8) lgkmcnt(0)                              // 00000001B91C: BF8C0078
	v_mul_u32_u24_dpp v64, v17, v54 row_newbcast:0 row_mask:0xf bank_mask:0xf// 00000001B920: 10806CFA FF015011
	v_mul_u32_u24_dpp v65, v17, v54 row_newbcast:4 row_mask:0xf bank_mask:0xf// 00000001B928: 10826CFA FF015411
	v_mul_u32_u24_dpp v66, v17, v54 row_newbcast:8 row_mask:0xf bank_mask:0xf// 00000001B930: 10846CFA FF015811
	v_mul_u32_u24_dpp v67, v17, v54 row_newbcast:12 row_mask:0xf bank_mask:0xf// 00000001B938: 10866CFA FF015C11
	v_add_u32_e32 v26, v64, v5                                 // 00000001B940: 68340B40
	v_add_u32_e32 v27, v65, v5                                 // 00000001B944: 68360B41
	v_add_u32_e32 v28, v66, v5                                 // 00000001B948: 68380B42
	v_add_u32_e32 v29, v67, v5                                 // 00000001B94C: 683A0B43
	v_mul_u32_u24_dpp v64, v17, v63 quad_perm:[0,0,0,0] row_mask:0xf bank_mask:0xf// 00000001B950: 10807EFA FF000011
	v_add_u32_e32 v3, v64, v59                                 // 00000001B958: 68067740
	v_mul_u32_u24_dpp v64, v17, v63 quad_perm:[0,0,0,0] row_mask:0xf bank_mask:0xf// 00000001B95C: 10807EFA FF000011
	v_add_u32_e32 v56, v64, v60                                // 00000001B964: 68707940
	v_mfma_i32_16x16x32_i8 v[112:115], a[0:1], v[80:81], 0     // 00000001B968: D3D70070 0A02A100
	v_mfma_i32_16x16x32_i8 v[112:115], a[2:3], v[82:83], v[112:115]// 00000001B970: D3D70070 0DC2A502
	buffer_load_dwordx4 a[32:35], v26, s[16:19], 0 offen       // 00000001B978: E05C1000 8084201A
	v_mfma_i32_16x16x32_i8 v[112:115], a[4:5], v[84:85], v[112:115]// 00000001B980: D3D70070 0DC2A904
	v_mfma_i32_16x16x32_i8 v[112:115], a[6:7], v[86:87], v[112:115]// 00000001B988: D3D70070 0DC2AD06
	buffer_load_dword v16, v1, s[24:27], 0 offen               // 00000001B990: E0501000 80061001
	v_mfma_i32_16x16x32_i8 v[116:119], a[8:9], v[80:81], 0     // 00000001B998: D3D70074 0A02A108
	v_mfma_i32_16x16x32_i8 v[116:119], a[10:11], v[82:83], v[116:119]// 00000001B9A0: D3D70074 0DD2A50A
	buffer_load_dwordx4 a[36:39], v26, s[16:19], 0 offen offset:1024// 00000001B9A8: E05C1400 8084241A
	v_mfma_i32_16x16x32_i8 v[116:119], a[12:13], v[84:85], v[116:119]// 00000001B9B0: D3D70074 0DD2A90C
	v_mfma_i32_16x16x32_i8 v[116:119], a[14:15], v[86:87], v[116:119]// 00000001B9B8: D3D70074 0DD2AD0E
	v_mfma_i32_16x16x32_i8 v[120:123], a[16:17], v[80:81], 0   // 00000001B9C0: D3D70078 0A02A110
	v_mfma_i32_16x16x32_i8 v[120:123], a[18:19], v[82:83], v[120:123]// 00000001B9C8: D3D70078 0DE2A512
	buffer_load_dwordx4 a[40:43], v27, s[16:19], 0 offen       // 00000001B9D0: E05C1000 8084281B
	v_mfma_i32_16x16x32_i8 v[120:123], a[20:21], v[84:85], v[120:123]// 00000001B9D8: D3D70078 0DE2A914
	v_mfma_i32_16x16x32_i8 v[120:123], a[22:23], v[86:87], v[120:123]// 00000001B9E0: D3D70078 0DE2AD16
	v_mfma_i32_16x16x32_i8 v[124:127], a[24:25], v[80:81], 0   // 00000001B9E8: D3D7007C 0A02A118
	v_mfma_i32_16x16x32_i8 v[124:127], a[26:27], v[82:83], v[124:127]// 00000001B9F0: D3D7007C 0DF2A51A
	buffer_load_dwordx4 a[44:47], v27, s[16:19], 0 offen offset:1024// 00000001B9F8: E05C1400 80842C1B
	v_mfma_i32_16x16x32_i8 v[124:127], a[28:29], v[84:85], v[124:127]// 00000001BA00: D3D7007C 0DF2A91C
	v_mfma_i32_16x16x32_i8 v[124:127], a[30:31], v[86:87], v[124:127]// 00000001BA08: D3D7007C 0DF2AD1E
	v_mfma_i32_16x16x32_i8 v[128:131], a[0:1], v[88:89], 0     // 00000001BA10: D3D70080 0A02B100
	v_mfma_i32_16x16x32_i8 v[128:131], a[2:3], v[90:91], v[128:131]// 00000001BA18: D3D70080 0E02B502
	v_mfma_i32_16x16x32_i8 v[128:131], a[4:5], v[92:93], v[128:131]// 00000001BA20: D3D70080 0E02B904
	v_mfma_i32_16x16x32_i8 v[128:131], a[6:7], v[94:95], v[128:131]// 00000001BA28: D3D70080 0E02BD06
	v_mfma_i32_16x16x32_i8 v[132:135], a[8:9], v[88:89], 0     // 00000001BA30: D3D70084 0A02B108
	v_mfma_i32_16x16x32_i8 v[132:135], a[10:11], v[90:91], v[132:135]// 00000001BA38: D3D70084 0E12B50A
	v_mfma_i32_16x16x32_i8 v[132:135], a[12:13], v[92:93], v[132:135]// 00000001BA40: D3D70084 0E12B90C
	v_mfma_i32_16x16x32_i8 v[132:135], a[14:15], v[94:95], v[132:135]// 00000001BA48: D3D70084 0E12BD0E
	v_mfma_i32_16x16x32_i8 v[136:139], a[16:17], v[88:89], 0   // 00000001BA50: D3D70088 0A02B110
	v_mfma_i32_16x16x32_i8 v[136:139], a[18:19], v[90:91], v[136:139]// 00000001BA58: D3D70088 0E22B512
	v_mfma_i32_16x16x32_i8 v[136:139], a[20:21], v[92:93], v[136:139]// 00000001BA60: D3D70088 0E22B914
	v_mfma_i32_16x16x32_i8 v[136:139], a[22:23], v[94:95], v[136:139]// 00000001BA68: D3D70088 0E22BD16
	v_mfma_i32_16x16x32_i8 v[140:143], a[24:25], v[88:89], 0   // 00000001BA70: D3D7008C 0A02B118
	v_mfma_i32_16x16x32_i8 v[140:143], a[26:27], v[90:91], v[140:143]// 00000001BA78: D3D7008C 0E32B51A
	v_mfma_i32_16x16x32_i8 v[140:143], a[28:29], v[92:93], v[140:143]// 00000001BA80: D3D7008C 0E32B91C
	v_mfma_i32_16x16x32_i8 v[140:143], a[30:31], v[94:95], v[140:143]// 00000001BA88: D3D7008C 0E32BD1E
	v_mfma_i32_16x16x32_i8 v[144:147], a[0:1], v[96:97], 0     // 00000001BA90: D3D70090 0A02C100
	v_mfma_i32_16x16x32_i8 v[144:147], a[2:3], v[98:99], v[144:147]// 00000001BA98: D3D70090 0E42C502
	v_mfma_i32_16x16x32_i8 v[144:147], a[4:5], v[100:101], v[144:147]// 00000001BAA0: D3D70090 0E42C904
	v_mfma_i32_16x16x32_i8 v[144:147], a[6:7], v[102:103], v[144:147]// 00000001BAA8: D3D70090 0E42CD06
	v_mfma_i32_16x16x32_i8 v[148:151], a[8:9], v[96:97], 0     // 00000001BAB0: D3D70094 0A02C108
	v_mfma_i32_16x16x32_i8 v[148:151], a[10:11], v[98:99], v[148:151]// 00000001BAB8: D3D70094 0E52C50A
	v_mfma_i32_16x16x32_i8 v[148:151], a[12:13], v[100:101], v[148:151]// 00000001BAC0: D3D70094 0E52C90C
	v_mfma_i32_16x16x32_i8 v[148:151], a[14:15], v[102:103], v[148:151]// 00000001BAC8: D3D70094 0E52CD0E
	v_mfma_i32_16x16x32_i8 v[152:155], a[16:17], v[96:97], 0   // 00000001BAD0: D3D70098 0A02C110
	v_mfma_i32_16x16x32_i8 v[152:155], a[18:19], v[98:99], v[152:155]// 00000001BAD8: D3D70098 0E62C512
	v_mfma_i32_16x16x32_i8 v[152:155], a[20:21], v[100:101], v[152:155]// 00000001BAE0: D3D70098 0E62C914
	v_mfma_i32_16x16x32_i8 v[152:155], a[22:23], v[102:103], v[152:155]// 00000001BAE8: D3D70098 0E62CD16
	v_mfma_i32_16x16x32_i8 v[156:159], a[24:25], v[96:97], 0   // 00000001BAF0: D3D7009C 0A02C118
	v_mfma_i32_16x16x32_i8 v[156:159], a[26:27], v[98:99], v[156:159]// 00000001BAF8: D3D7009C 0E72C51A
	v_mfma_i32_16x16x32_i8 v[156:159], a[28:29], v[100:101], v[156:159]// 00000001BB00: D3D7009C 0E72C91C
	v_mfma_i32_16x16x32_i8 v[156:159], a[30:31], v[102:103], v[156:159]// 00000001BB08: D3D7009C 0E72CD1E
	v_mfma_i32_16x16x32_i8 v[160:163], a[0:1], v[104:105], 0   // 00000001BB10: D3D700A0 0A02D100
	v_mfma_i32_16x16x32_i8 v[160:163], a[2:3], v[106:107], v[160:163]// 00000001BB18: D3D700A0 0E82D502
	v_mfma_i32_16x16x32_i8 v[160:163], a[4:5], v[108:109], v[160:163]// 00000001BB20: D3D700A0 0E82D904
	v_mfma_i32_16x16x32_i8 v[160:163], a[6:7], v[110:111], v[160:163]// 00000001BB28: D3D700A0 0E82DD06
	v_mfma_i32_16x16x32_i8 v[164:167], a[8:9], v[104:105], 0   // 00000001BB30: D3D700A4 0A02D108
	v_mfma_i32_16x16x32_i8 v[164:167], a[10:11], v[106:107], v[164:167]// 00000001BB38: D3D700A4 0E92D50A
	v_mfma_i32_16x16x32_i8 v[164:167], a[12:13], v[108:109], v[164:167]// 00000001BB40: D3D700A4 0E92D90C
	v_mfma_i32_16x16x32_i8 v[164:167], a[14:15], v[110:111], v[164:167]// 00000001BB48: D3D700A4 0E92DD0E
	v_mfma_i32_16x16x32_i8 v[168:171], a[16:17], v[104:105], 0 // 00000001BB50: D3D700A8 0A02D110
	v_mfma_i32_16x16x32_i8 v[168:171], a[18:19], v[106:107], v[168:171]// 00000001BB58: D3D700A8 0EA2D512
	v_mfma_i32_16x16x32_i8 v[168:171], a[20:21], v[108:109], v[168:171]// 00000001BB60: D3D700A8 0EA2D914
	v_mfma_i32_16x16x32_i8 v[168:171], a[22:23], v[110:111], v[168:171]// 00000001BB68: D3D700A8 0EA2DD16
	v_mfma_i32_16x16x32_i8 v[172:175], a[24:25], v[104:105], 0 // 00000001BB70: D3D700AC 0A02D118
	v_mfma_i32_16x16x32_i8 v[172:175], a[26:27], v[106:107], v[172:175]// 00000001BB78: D3D700AC 0EB2D51A
	v_mfma_i32_16x16x32_i8 v[172:175], a[28:29], v[108:109], v[172:175]// 00000001BB80: D3D700AC 0EB2D91C
	v_mfma_i32_16x16x32_i8 v[172:175], a[30:31], v[110:111], v[172:175]// 00000001BB88: D3D700AC 0EB2DD1E
	buffer_load_dword v43, v3, s[32:35], 0 offen               // 00000001BB90: E0501000 80082B03
	v_mov_b32_dpp v64, v42 row_shr:4 row_mask:0xf bank_mask:0xf// 00000001BB98: 7E8002FA FF01142A
	v_mov_b32_dpp v65, v42 row_shl:4 row_mask:0xf bank_mask:0xf// 00000001BBA0: 7E8202FA FF01042A
	v_cndmask_b32_e64 v248, v42, v64, s[44:45]                 // 00000001BBA8: D10000F8 00B2812A
	v_cndmask_b32_e64 v249, v65, v42, s[44:45]                 // 00000001BBB0: D10000F9 00B25541
	v_mov_b32_dpp v64, v248 row_shr:8 row_mask:0xf bank_mask:0xf// 00000001BBB8: 7E8002FA FF0118F8
	v_mov_b32_dpp v65, v248 row_shl:8 row_mask:0xf bank_mask:0xf// 00000001BBC0: 7E8202FA FF0108F8
	v_mov_b32_dpp v66, v249 row_shr:8 row_mask:0xf bank_mask:0xf// 00000001BBC8: 7E8402FA FF0118F9
	v_mov_b32_dpp v67, v249 row_shl:8 row_mask:0xf bank_mask:0xf// 00000001BBD0: 7E8602FA FF0108F9
	v_mov_b32_e32 v68, v248                                    // 00000001BBD8: 7E8803F8
	v_mov_b32_e32 v69, v249                                    // 00000001BBDC: 7E8A03F9
	v_cndmask_b32_e64 v248, v68, v64, s[42:43]                 // 00000001BBE0: D10000F8 00AA8144
	v_cndmask_b32_e64 v250, v68, v65, s[78:79]                 // 00000001BBE8: D10000FA 013A8344
	v_cndmask_b32_e64 v249, v69, v66, s[42:43]                 // 00000001BBF0: D10000F9 00AA8545
	v_cndmask_b32_e64 v251, v69, v67, s[78:79]                 // 00000001BBF8: D10000FB 013A8745
	v_mov_b32_dpp v64, v57 row_shr:4 row_mask:0xf bank_mask:0xf// 00000001BC00: 7E8002FA FF011439
	v_mov_b32_dpp v65, v57 row_shl:4 row_mask:0xf bank_mask:0xf// 00000001BC08: 7E8202FA FF010439
	v_cndmask_b32_e64 v252, v57, v64, s[44:45]                 // 00000001BC10: D10000FC 00B28139
	v_cndmask_b32_e64 v253, v65, v57, s[44:45]                 // 00000001BC18: D10000FD 00B27341
	v_mov_b32_dpp v64, v252 row_shr:8 row_mask:0xf bank_mask:0xf// 00000001BC20: 7E8002FA FF0118FC
	v_mov_b32_dpp v65, v252 row_shl:8 row_mask:0xf bank_mask:0xf// 00000001BC28: 7E8202FA FF0108FC
	v_mov_b32_dpp v66, v253 row_shr:8 row_mask:0xf bank_mask:0xf// 00000001BC30: 7E8402FA FF0118FD
	v_mov_b32_dpp v67, v253 row_shl:8 row_mask:0xf bank_mask:0xf// 00000001BC38: 7E8602FA FF0108FD
	v_mov_b32_e32 v68, v252                                    // 00000001BC40: 7E8803FC
	v_mov_b32_e32 v69, v253                                    // 00000001BC44: 7E8A03FD
	v_cndmask_b32_e64 v252, v68, v64, s[42:43]                 // 00000001BC48: D10000FC 00AA8144
	v_cndmask_b32_e64 v254, v68, v65, s[78:79]                 // 00000001BC50: D10000FE 013A8344
	v_cndmask_b32_e64 v253, v69, v66, s[42:43]                 // 00000001BC58: D10000FD 00AA8545
	v_cndmask_b32_e64 v255, v69, v67, s[78:79]                 // 00000001BC60: D10000FF 013A8745
	buffer_load_dword v58, v56, s[36:39], 0 offen              // 00000001BC68: E0501000 80093A38
	v_cvt_f32_i32_e32 v112, v112                               // 00000001BC70: 7EE00B70
	v_cvt_f32_i32_e32 v113, v113                               // 00000001BC74: 7EE20B71
	v_cvt_f32_i32_e32 v114, v114                               // 00000001BC78: 7EE40B72
	v_cvt_f32_i32_e32 v115, v115                               // 00000001BC7C: 7EE60B73
	v_cvt_f32_i32_e32 v116, v116                               // 00000001BC80: 7EE80B74
	v_cvt_f32_i32_e32 v117, v117                               // 00000001BC84: 7EEA0B75
	v_cvt_f32_i32_e32 v118, v118                               // 00000001BC88: 7EEC0B76
	v_cvt_f32_i32_e32 v119, v119                               // 00000001BC8C: 7EEE0B77
	v_cvt_f32_i32_e32 v120, v120                               // 00000001BC90: 7EF00B78
	v_cvt_f32_i32_e32 v121, v121                               // 00000001BC94: 7EF20B79
	v_cvt_f32_i32_e32 v122, v122                               // 00000001BC98: 7EF40B7A
	v_cvt_f32_i32_e32 v123, v123                               // 00000001BC9C: 7EF60B7B
	v_cvt_f32_i32_e32 v124, v124                               // 00000001BCA0: 7EF80B7C
	v_cvt_f32_i32_e32 v125, v125                               // 00000001BCA4: 7EFA0B7D
	v_cvt_f32_i32_e32 v126, v126                               // 00000001BCA8: 7EFC0B7E
	v_cvt_f32_i32_e32 v127, v127                               // 00000001BCAC: 7EFE0B7F
	v_mul_f32_e32 v112, v18, v112                              // 00000001BCB0: 0AE0E112
	v_mul_f32_e32 v113, v18, v113                              // 00000001BCB4: 0AE2E312
	v_mul_f32_e32 v114, v18, v114                              // 00000001BCB8: 0AE4E512
	v_mul_f32_e32 v115, v18, v115                              // 00000001BCBC: 0AE6E712
	v_mul_f32_e32 v116, v18, v116                              // 00000001BCC0: 0AE8E912
	v_mul_f32_e32 v117, v18, v117                              // 00000001BCC4: 0AEAEB12
	v_mul_f32_e32 v118, v18, v118                              // 00000001BCC8: 0AECED12
	v_mul_f32_e32 v119, v18, v119                              // 00000001BCCC: 0AEEEF12
	v_mul_f32_e32 v120, v18, v120                              // 00000001BCD0: 0AF0F112
	v_mul_f32_e32 v121, v18, v121                              // 00000001BCD4: 0AF2F312
	v_mul_f32_e32 v122, v18, v122                              // 00000001BCD8: 0AF4F512
	v_mul_f32_e32 v123, v18, v123                              // 00000001BCDC: 0AF6F712
	v_mul_f32_e32 v124, v18, v124                              // 00000001BCE0: 0AF8F912
	v_mul_f32_e32 v125, v18, v125                              // 00000001BCE4: 0AFAFB12
	v_mul_f32_e32 v126, v18, v126                              // 00000001BCE8: 0AFCFD12
	v_mul_f32_e32 v127, v18, v127                              // 00000001BCEC: 0AFEFF12
	buffer_load_dwordx4 a[48:51], v28, s[16:19], 0 offen       // 00000001BCF0: E05C1000 8084301C
	v_mul_f32_dpp v112, v248, v112 quad_perm:[0,0,0,0] row_mask:0xf bank_mask:0xf// 00000001BCF8: 0AE0E0FA FF0000F8
	v_mul_f32_dpp v113, v248, v113 quad_perm:[1,1,1,1] row_mask:0xf bank_mask:0xf// 00000001BD00: 0AE2E2FA FF0055F8
	v_mul_f32_dpp v114, v248, v114 quad_perm:[2,2,2,2] row_mask:0xf bank_mask:0xf// 00000001BD08: 0AE4E4FA FF00AAF8
	v_mul_f32_dpp v115, v248, v115 quad_perm:[3,3,3,3] row_mask:0xf bank_mask:0xf// 00000001BD10: 0AE6E6FA FF00FFF8
	v_mul_f32_dpp v116, v249, v116 quad_perm:[0,0,0,0] row_mask:0xf bank_mask:0xf// 00000001BD18: 0AE8E8FA FF0000F9
	v_mul_f32_dpp v117, v249, v117 quad_perm:[1,1,1,1] row_mask:0xf bank_mask:0xf// 00000001BD20: 0AEAEAFA FF0055F9
	v_mul_f32_dpp v118, v249, v118 quad_perm:[2,2,2,2] row_mask:0xf bank_mask:0xf// 00000001BD28: 0AECECFA FF00AAF9
	v_mul_f32_dpp v119, v249, v119 quad_perm:[3,3,3,3] row_mask:0xf bank_mask:0xf// 00000001BD30: 0AEEEEFA FF00FFF9
	v_mul_f32_dpp v120, v250, v120 quad_perm:[0,0,0,0] row_mask:0xf bank_mask:0xf// 00000001BD38: 0AF0F0FA FF0000FA
	v_mul_f32_dpp v121, v250, v121 quad_perm:[1,1,1,1] row_mask:0xf bank_mask:0xf// 00000001BD40: 0AF2F2FA FF0055FA
	v_mul_f32_dpp v122, v250, v122 quad_perm:[2,2,2,2] row_mask:0xf bank_mask:0xf// 00000001BD48: 0AF4F4FA FF00AAFA
	v_mul_f32_dpp v123, v250, v123 quad_perm:[3,3,3,3] row_mask:0xf bank_mask:0xf// 00000001BD50: 0AF6F6FA FF00FFFA
	v_mul_f32_dpp v124, v251, v124 quad_perm:[0,0,0,0] row_mask:0xf bank_mask:0xf// 00000001BD58: 0AF8F8FA FF0000FB
	v_mul_f32_dpp v125, v251, v125 quad_perm:[1,1,1,1] row_mask:0xf bank_mask:0xf// 00000001BD60: 0AFAFAFA FF0055FB
	v_mul_f32_dpp v126, v251, v126 quad_perm:[2,2,2,2] row_mask:0xf bank_mask:0xf// 00000001BD68: 0AFCFCFA FF00AAFB
	v_mul_f32_dpp v127, v251, v127 quad_perm:[3,3,3,3] row_mask:0xf bank_mask:0xf// 00000001BD70: 0AFEFEFA FF00FFFB
	buffer_load_dwordx4 a[52:55], v28, s[16:19], 0 offen offset:1024// 00000001BD78: E05C1400 8084341C
	v_mov_b32_e32 v48, v112                                    // 00000001BD80: 7E600370
	v_max3_f32 v48, v112, v113, v48                            // 00000001BD84: D1D30030 04C2E370
	v_max3_f32 v48, v114, v115, v48                            // 00000001BD8C: D1D30030 04C2E772
	v_max3_f32 v48, v116, v117, v48                            // 00000001BD94: D1D30030 04C2EB74
	v_max3_f32 v48, v118, v119, v48                            // 00000001BD9C: D1D30030 04C2EF76
	v_max3_f32 v48, v120, v121, v48                            // 00000001BDA4: D1D30030 04C2F378
	v_max3_f32 v48, v122, v123, v48                            // 00000001BDAC: D1D30030 04C2F77A
	v_max3_f32 v48, v124, v125, v48                            // 00000001BDB4: D1D30030 04C2FB7C
	v_max3_f32 v48, v126, v127, v48                            // 00000001BDBC: D1D30030 04C2FF7E
	ds_write_b32 v8, v48 offset:16896                          // 00000001BDC4: D81A4200 00003008
	buffer_load_dwordx4 a[56:59], v29, s[16:19], 0 offen       // 00000001BDCC: E05C1000 8084381D
	v_mul_u32_u24_dpp v64, v17, v54 row_newbcast:1 row_mask:0xf bank_mask:0xf// 00000001BDD4: 10806CFA FF015111
	v_mul_u32_u24_dpp v65, v17, v54 row_newbcast:5 row_mask:0xf bank_mask:0xf// 00000001BDDC: 10826CFA FF015511
	v_mul_u32_u24_dpp v66, v17, v54 row_newbcast:9 row_mask:0xf bank_mask:0xf// 00000001BDE4: 10846CFA FF015911
	v_mul_u32_u24_dpp v67, v17, v54 row_newbcast:13 row_mask:0xf bank_mask:0xf// 00000001BDEC: 10866CFA FF015D11
	v_add_u32_e32 v34, v64, v6                                 // 00000001BDF4: 68440D40
	v_add_u32_e32 v35, v65, v6                                 // 00000001BDF8: 68460D41
	v_add_u32_e32 v36, v66, v6                                 // 00000001BDFC: 68480D42
	v_add_u32_e32 v37, v67, v6                                 // 00000001BE00: 684A0D43
	v_mul_f32_e32 v208, v49, v208                              // 00000001BE04: 0BA1A131
	v_mul_f32_e32 v209, v49, v209                              // 00000001BE08: 0BA3A331
	v_mul_f32_e32 v210, v49, v210                              // 00000001BE0C: 0BA5A531
	v_mul_f32_e32 v211, v49, v211                              // 00000001BE10: 0BA7A731
	v_mul_f32_e32 v212, v49, v212                              // 00000001BE14: 0BA9A931
	v_mul_f32_e32 v213, v49, v213                              // 00000001BE18: 0BABAB31
	v_mul_f32_e32 v214, v49, v214                              // 00000001BE1C: 0BADAD31
	v_mul_f32_e32 v215, v49, v215                              // 00000001BE20: 0BAFAF31
	s_waitcnt lgkmcnt(0)                                       // 00000001BE24: BF8CC07F
	s_barrier                                                  // 00000001BE28: BF8A0000
	ds_read_b32 v64, v7 offset:16896                           // 00000001BE2C: D86C4200 40000007
	ds_read_b32 v65, v7 offset:16960                           // 00000001BE34: D86C4240 41000007
	ds_read_b32 v66, v7 offset:17024                           // 00000001BE3C: D86C4280 42000007
	ds_read_b32 v67, v7 offset:17088                           // 00000001BE44: D86C42C0 43000007
	ds_read_b32 v68, v7 offset:17152                           // 00000001BE4C: D86C4300 44000007
	ds_read_b32 v69, v7 offset:17216                           // 00000001BE54: D86C4340 45000007
	ds_read_b32 v70, v7 offset:17280                           // 00000001BE5C: D86C4380 46000007
	ds_read_b32 v71, v7 offset:17344                           // 00000001BE64: D86C43C0 47000007
	ds_read_b32 v72, v7 offset:17408                           // 00000001BE6C: D86C4400 48000007
	ds_read_b32 v73, v7 offset:17472                           // 00000001BE74: D86C4440 49000007
	ds_read_b32 v74, v7 offset:17536                           // 00000001BE7C: D86C4480 4A000007
	ds_read_b32 v75, v7 offset:17600                           // 00000001BE84: D86C44C0 4B000007
	ds_read_b32 v76, v7 offset:17664                           // 00000001BE8C: D86C4500 4C000007
	ds_read_b32 v77, v7 offset:17728                           // 00000001BE94: D86C4540 4D000007
	ds_read_b32 v78, v7 offset:17792                           // 00000001BE9C: D86C4580 4E000007
	ds_read_b32 v79, v7 offset:17856                           // 00000001BEA4: D86C45C0 4F000007
	buffer_load_dwordx4 a[60:63], v29, s[16:19], 0 offen offset:1024// 00000001BEAC: E05C1400 80843C1D
	v_cvt_f32_i32_e32 v176, v176                               // 00000001BEB4: 7F600BB0
	v_cvt_f32_i32_e32 v177, v177                               // 00000001BEB8: 7F620BB1
	v_cvt_f32_i32_e32 v178, v178                               // 00000001BEBC: 7F640BB2
	v_cvt_f32_i32_e32 v179, v179                               // 00000001BEC0: 7F660BB3
	v_cvt_f32_i32_e32 v180, v180                               // 00000001BEC4: 7F680BB4
	v_cvt_f32_i32_e32 v181, v181                               // 00000001BEC8: 7F6A0BB5
	v_cvt_f32_i32_e32 v182, v182                               // 00000001BECC: 7F6C0BB6
	v_cvt_f32_i32_e32 v183, v183                               // 00000001BED0: 7F6E0BB7
	v_mul_f32_e32 v176, v44, v176                              // 00000001BED4: 0B61612C
	v_mul_f32_e32 v177, v44, v177                              // 00000001BED8: 0B63632C
	v_mul_f32_e32 v178, v44, v178                              // 00000001BEDC: 0B65652C
	v_mul_f32_e32 v179, v44, v179                              // 00000001BEE0: 0B67672C
	v_mul_f32_e32 v180, v44, v180                              // 00000001BEE4: 0B69692C
	v_mul_f32_e32 v181, v44, v181                              // 00000001BEE8: 0B6B6B2C
	v_mul_f32_e32 v182, v44, v182                              // 00000001BEEC: 0B6D6D2C
	v_mul_f32_e32 v183, v44, v183                              // 00000001BEF0: 0B6F6F2C
	s_waitcnt lgkmcnt(0)                                       // 00000001BEF4: BF8CC07F
	v_max3_f32 v48, v64, v65, v48                              // 00000001BEF8: D1D30030 04C28340
	v_max3_f32 v48, v66, v67, v48                              // 00000001BF00: D1D30030 04C28742
	v_max3_f32 v48, v68, v69, v48                              // 00000001BF08: D1D30030 04C28B44
	v_max3_f32 v48, v70, v71, v48                              // 00000001BF10: D1D30030 04C28F46
	v_max3_f32 v48, v72, v73, v48                              // 00000001BF18: D1D30030 04C29348
	v_max3_f32 v48, v74, v75, v48                              // 00000001BF20: D1D30030 04C2974A
	v_max3_f32 v48, v76, v77, v48                              // 00000001BF28: D1D30030 04C29B4C
	v_max3_f32 v48, v78, v79, v48                              // 00000001BF30: D1D30030 04C29F4E
	buffer_load_dwordx4 a[96:99], v34, s[20:23], 0 offen       // 00000001BF38: E05C1000 80856022
	v_mov_b32_e32 v64, 0xff800000                              // 00000001BF40: 7E8002FF FF800000
	v_cmp_eq_u32_e64 s[40:41], v64, v11                        // 00000001BF48: D0CA0028 00021740
	s_nop 1                                                    // 00000001BF50: BF800001
	v_max_f32_e32 v15, v48, v11                                // 00000001BF54: 161E1730
	v_mul_f32_e32 v53, s64, v15                                // 00000001BF58: 0A6A1E40
	v_fma_f32 v112, v112, s64, -v53                            // 00000001BF5C: D1CB0070 84D48170
	v_fma_f32 v113, v113, s64, -v53                            // 00000001BF64: D1CB0071 84D48171
	v_fma_f32 v114, v114, s64, -v53                            // 00000001BF6C: D1CB0072 84D48172
	v_fma_f32 v115, v115, s64, -v53                            // 00000001BF74: D1CB0073 84D48173
	v_fma_f32 v116, v116, s64, -v53                            // 00000001BF7C: D1CB0074 84D48174
	v_fma_f32 v117, v117, s64, -v53                            // 00000001BF84: D1CB0075 84D48175
	v_fma_f32 v118, v118, s64, -v53                            // 00000001BF8C: D1CB0076 84D48176
	v_fma_f32 v119, v119, s64, -v53                            // 00000001BF94: D1CB0077 84D48177
	v_fma_f32 v120, v120, s64, -v53                            // 00000001BF9C: D1CB0078 84D48178
	v_fma_f32 v121, v121, s64, -v53                            // 00000001BFA4: D1CB0079 84D48179
	v_fma_f32 v122, v122, s64, -v53                            // 00000001BFAC: D1CB007A 84D4817A
	v_fma_f32 v123, v123, s64, -v53                            // 00000001BFB4: D1CB007B 84D4817B
	v_fma_f32 v124, v124, s64, -v53                            // 00000001BFBC: D1CB007C 84D4817C
	v_fma_f32 v125, v125, s64, -v53                            // 00000001BFC4: D1CB007D 84D4817D
	v_fma_f32 v126, v126, s64, -v53                            // 00000001BFCC: D1CB007E 84D4817E
	v_fma_f32 v127, v127, s64, -v53                            // 00000001BFD4: D1CB007F 84D4817F
	buffer_load_dwordx4 a[100:103], v35, s[20:23], 0 offen     // 00000001BFDC: E05C1000 80856423
	v_exp_f32_e32 v112, v112                                   // 00000001BFE4: 7EE04170
	v_exp_f32_e32 v113, v113                                   // 00000001BFE8: 7EE24171
	v_exp_f32_e32 v114, v114                                   // 00000001BFEC: 7EE44172
	v_exp_f32_e32 v115, v115                                   // 00000001BFF0: 7EE64173
	v_exp_f32_e32 v116, v116                                   // 00000001BFF4: 7EE84174
	v_exp_f32_e32 v117, v117                                   // 00000001BFF8: 7EEA4175
	v_exp_f32_e32 v118, v118                                   // 00000001BFFC: 7EEC4176
	v_exp_f32_e32 v119, v119                                   // 00000001C000: 7EEE4177
	v_exp_f32_e32 v120, v120                                   // 00000001C004: 7EF04178
	v_exp_f32_e32 v121, v121                                   // 00000001C008: 7EF24179
	v_exp_f32_e32 v122, v122                                   // 00000001C00C: 7EF4417A
	v_exp_f32_e32 v123, v123                                   // 00000001C010: 7EF6417B
	v_exp_f32_e32 v124, v124                                   // 00000001C014: 7EF8417C
	v_exp_f32_e32 v125, v125                                   // 00000001C018: 7EFA417D
	v_exp_f32_e32 v126, v126                                   // 00000001C01C: 7EFC417E
	v_exp_f32_e32 v127, v127                                   // 00000001C020: 7EFE417F
	buffer_load_dwordx4 a[104:107], v36, s[20:23], 0 offen     // 00000001C024: E05C1000 80856824
	v_mul_f32_dpp v240, v252, v112 quad_perm:[0,0,0,0] row_mask:0xf bank_mask:0xf// 00000001C02C: 0BE0E0FA FF0000FC
	v_mul_f32_dpp v241, v252, v113 quad_perm:[1,1,1,1] row_mask:0xf bank_mask:0xf// 00000001C034: 0BE2E2FA FF0055FC
	v_mul_f32_dpp v242, v252, v114 quad_perm:[2,2,2,2] row_mask:0xf bank_mask:0xf// 00000001C03C: 0BE4E4FA FF00AAFC
	v_mul_f32_dpp v243, v252, v115 quad_perm:[3,3,3,3] row_mask:0xf bank_mask:0xf// 00000001C044: 0BE6E6FA FF00FFFC
	v_mul_f32_dpp v244, v253, v116 quad_perm:[0,0,0,0] row_mask:0xf bank_mask:0xf// 00000001C04C: 0BE8E8FA FF0000FD
	v_mul_f32_dpp v245, v253, v117 quad_perm:[1,1,1,1] row_mask:0xf bank_mask:0xf// 00000001C054: 0BEAEAFA FF0055FD
	v_mul_f32_dpp v246, v253, v118 quad_perm:[2,2,2,2] row_mask:0xf bank_mask:0xf// 00000001C05C: 0BECECFA FF00AAFD
	v_mul_f32_dpp v247, v253, v119 quad_perm:[3,3,3,3] row_mask:0xf bank_mask:0xf// 00000001C064: 0BEEEEFA FF00FFFD
	v_mul_f32_dpp v248, v254, v120 quad_perm:[0,0,0,0] row_mask:0xf bank_mask:0xf// 00000001C06C: 0BF0F0FA FF0000FE
	v_mul_f32_dpp v249, v254, v121 quad_perm:[1,1,1,1] row_mask:0xf bank_mask:0xf// 00000001C074: 0BF2F2FA FF0055FE
	v_mul_f32_dpp v250, v254, v122 quad_perm:[2,2,2,2] row_mask:0xf bank_mask:0xf// 00000001C07C: 0BF4F4FA FF00AAFE
	v_mul_f32_dpp v251, v254, v123 quad_perm:[3,3,3,3] row_mask:0xf bank_mask:0xf// 00000001C084: 0BF6F6FA FF00FFFE
	v_mul_f32_dpp v252, v255, v124 quad_perm:[0,0,0,0] row_mask:0xf bank_mask:0xf// 00000001C08C: 0BF8F8FA FF0000FF
	v_mul_f32_dpp v253, v255, v125 quad_perm:[1,1,1,1] row_mask:0xf bank_mask:0xf// 00000001C094: 0BFAFAFA FF0055FF
	v_mul_f32_dpp v254, v255, v126 quad_perm:[2,2,2,2] row_mask:0xf bank_mask:0xf// 00000001C09C: 0BFCFCFA FF00AAFF
	v_mul_f32_dpp v255, v255, v127 quad_perm:[3,3,3,3] row_mask:0xf bank_mask:0xf// 00000001C0A4: 0BFEFEFA FF00FFFF
	v_mov_b32_e32 v48, 0x358637bd                              // 00000001C0AC: 7E6002FF 358637BD
	v_max3_f32 v48, |v240|, |v241|, v48                        // 00000001C0B4: D1D30330 04C3E3F0
	v_max3_f32 v48, |v242|, |v243|, v48                        // 00000001C0BC: D1D30330 04C3E7F2
	v_max3_f32 v48, |v244|, |v245|, v48                        // 00000001C0C4: D1D30330 04C3EBF4
	v_max3_f32 v48, |v246|, |v247|, v48                        // 00000001C0CC: D1D30330 04C3EFF6
	v_max3_f32 v48, |v248|, |v249|, v48                        // 00000001C0D4: D1D30330 04C3F3F8
	v_max3_f32 v48, |v250|, |v251|, v48                        // 00000001C0DC: D1D30330 04C3F7FA
	v_max3_f32 v48, |v252|, |v253|, v48                        // 00000001C0E4: D1D30330 04C3FBFC
	v_max3_f32 v48, |v254|, |v255|, v48                        // 00000001C0EC: D1D30330 04C3FFFE
	buffer_load_dwordx4 a[108:111], v37, s[20:23], 0 offen     // 00000001C0F4: E05C1000 80856C25
	ds_write_b32 v8, v48 offset:20992                          // 00000001C0FC: D81A5200 00003008
	v_sub_f32_e32 v49, v11, v15                                // 00000001C104: 04621F0B
	v_cndmask_b32_e64 v49, v49, 0, s[40:41]                    // 00000001C108: D1000031 00A10131
	v_mov_b32_e32 v11, v15                                     // 00000001C110: 7E16030F
	v_mul_f32_e32 v49, s64, v49                                // 00000001C114: 0A626240
	v_exp_f32_e32 v49, v49                                     // 00000001C118: 7E624131
	s_waitcnt lgkmcnt(0)                                       // 00000001C11C: BF8CC07F
	s_barrier                                                  // 00000001C120: BF8A0000
	ds_read_b32 v64, v7 offset:20992                           // 00000001C124: D86C5200 40000007
	ds_read_b32 v65, v7 offset:21056                           // 00000001C12C: D86C5240 41000007
	ds_read_b32 v66, v7 offset:21120                           // 00000001C134: D86C5280 42000007
	ds_read_b32 v67, v7 offset:21184                           // 00000001C13C: D86C52C0 43000007
	ds_read_b32 v68, v7 offset:21248                           // 00000001C144: D86C5300 44000007
	ds_read_b32 v69, v7 offset:21312                           // 00000001C14C: D86C5340 45000007
	ds_read_b32 v70, v7 offset:21376                           // 00000001C154: D86C5380 46000007
	ds_read_b32 v71, v7 offset:21440                           // 00000001C15C: D86C53C0 47000007
	ds_read_b32 v72, v7 offset:21504                           // 00000001C164: D86C5400 48000007
	ds_read_b32 v73, v7 offset:21568                           // 00000001C16C: D86C5440 49000007
	ds_read_b32 v74, v7 offset:21632                           // 00000001C174: D86C5480 4A000007
	ds_read_b32 v75, v7 offset:21696                           // 00000001C17C: D86C54C0 4B000007
	ds_read_b32 v76, v7 offset:21760                           // 00000001C184: D86C5500 4C000007
	ds_read_b32 v77, v7 offset:21824                           // 00000001C18C: D86C5540 4D000007
	ds_read_b32 v78, v7 offset:21888                           // 00000001C194: D86C5580 4E000007
	ds_read_b32 v79, v7 offset:21952                           // 00000001C19C: D86C55C0 4F000007
	v_mul_f32_e32 v38, v49, v38                                // 00000001C1A4: 0A4C4D31
	v_mov_b32_e32 v15, v112                                    // 00000001C1A8: 7E1E0370
	v_add_f32_e32 v15, v113, v15                               // 00000001C1AC: 021E1F71
	v_add_f32_e32 v15, v114, v15                               // 00000001C1B0: 021E1F72
	v_add_f32_e32 v15, v115, v15                               // 00000001C1B4: 021E1F73
	v_add_f32_e32 v15, v116, v15                               // 00000001C1B8: 021E1F74
	v_add_f32_e32 v15, v117, v15                               // 00000001C1BC: 021E1F75
	v_add_f32_e32 v15, v118, v15                               // 00000001C1C0: 021E1F76
	v_add_f32_e32 v15, v119, v15                               // 00000001C1C4: 021E1F77
	v_add_f32_e32 v15, v120, v15                               // 00000001C1C8: 021E1F78
	v_add_f32_e32 v15, v121, v15                               // 00000001C1CC: 021E1F79
	v_add_f32_e32 v15, v122, v15                               // 00000001C1D0: 021E1F7A
	v_add_f32_e32 v15, v123, v15                               // 00000001C1D4: 021E1F7B
	v_add_f32_e32 v15, v124, v15                               // 00000001C1D8: 021E1F7C
	v_add_f32_e32 v15, v125, v15                               // 00000001C1DC: 021E1F7D
	v_add_f32_e32 v15, v126, v15                               // 00000001C1E0: 021E1F7E
	v_add_f32_e32 v15, v127, v15                               // 00000001C1E4: 021E1F7F
	v_add_f32_e32 v38, v15, v38                                // 00000001C1E8: 024C4D0F
	s_waitcnt lgkmcnt(0)                                       // 00000001C1EC: BF8CC07F
	v_max3_f32 v48, |v64|, |v65|, v48                          // 00000001C1F0: D1D30330 04C28340
	v_max3_f32 v48, |v66|, |v67|, v48                          // 00000001C1F8: D1D30330 04C28742
	v_max3_f32 v48, |v68|, |v69|, v48                          // 00000001C200: D1D30330 04C28B44
	v_max3_f32 v48, |v70|, |v71|, v48                          // 00000001C208: D1D30330 04C28F46
	v_max3_f32 v48, |v72|, |v73|, v48                          // 00000001C210: D1D30330 04C29348
	v_max3_f32 v48, |v74|, |v75|, v48                          // 00000001C218: D1D30330 04C2974A
	v_max3_f32 v48, |v76|, |v77|, v48                          // 00000001C220: D1D30330 04C29B4C
	v_max3_f32 v48, |v78|, |v79|, v48                          // 00000001C228: D1D30330 04C29F4E
	s_nop 2                                                    // 00000001C230: BF800002
	v_rcp_f32_e32 v48, v48                                     // 00000001C234: 7E604530
	s_nop 1                                                    // 00000001C238: BF800001
	v_mul_f32_e32 v48, 0x42fe0000, v48                         // 00000001C23C: 0A6060FF 42FE0000
	v_mul_f32_e32 v112, v48, v240                              // 00000001C244: 0AE1E130
	v_mul_f32_e32 v113, v48, v241                              // 00000001C248: 0AE3E330
	v_mul_f32_e32 v114, v48, v242                              // 00000001C24C: 0AE5E530
	v_mul_f32_e32 v115, v48, v243                              // 00000001C250: 0AE7E730
	v_mul_f32_e32 v116, v48, v244                              // 00000001C254: 0AE9E930
	v_mul_f32_e32 v117, v48, v245                              // 00000001C258: 0AEBEB30
	v_mul_f32_e32 v118, v48, v246                              // 00000001C25C: 0AEDED30
	v_mul_f32_e32 v119, v48, v247                              // 00000001C260: 0AEFEF30
	v_mul_f32_e32 v120, v48, v248                              // 00000001C264: 0AF1F130
	v_mul_f32_e32 v121, v48, v249                              // 00000001C268: 0AF3F330
	v_mul_f32_e32 v122, v48, v250                              // 00000001C26C: 0AF5F530
	v_mul_f32_e32 v123, v48, v251                              // 00000001C270: 0AF7F730
	v_mul_f32_e32 v124, v48, v252                              // 00000001C274: 0AF9F930
	v_mul_f32_e32 v125, v48, v253                              // 00000001C278: 0AFBFB30
	v_mul_f32_e32 v126, v48, v254                              // 00000001C27C: 0AFDFD30
	v_mul_f32_e32 v127, v48, v255                              // 00000001C280: 0AFFFF30
	v_cvt_i32_f32_e32 v112, v112                               // 00000001C284: 7EE01170
	v_cvt_i32_f32_e32 v113, v113                               // 00000001C288: 7EE21171
	v_cvt_i32_f32_e32 v114, v114                               // 00000001C28C: 7EE41172
	v_cvt_i32_f32_e32 v115, v115                               // 00000001C290: 7EE61173
	v_cvt_i32_f32_e32 v116, v116                               // 00000001C294: 7EE81174
	v_cvt_i32_f32_e32 v117, v117                               // 00000001C298: 7EEA1175
	v_cvt_i32_f32_e32 v118, v118                               // 00000001C29C: 7EEC1176
	v_cvt_i32_f32_e32 v119, v119                               // 00000001C2A0: 7EEE1177
	v_cvt_i32_f32_e32 v120, v120                               // 00000001C2A4: 7EF01178
	v_cvt_i32_f32_e32 v121, v121                               // 00000001C2A8: 7EF21179
	v_cvt_i32_f32_e32 v122, v122                               // 00000001C2AC: 7EF4117A
	v_cvt_i32_f32_e32 v123, v123                               // 00000001C2B0: 7EF6117B
	v_cvt_i32_f32_e32 v124, v124                               // 00000001C2B4: 7EF8117C
	v_cvt_i32_f32_e32 v125, v125                               // 00000001C2B8: 7EFA117D
	v_cvt_i32_f32_e32 v126, v126                               // 00000001C2BC: 7EFC117E
	v_cvt_i32_f32_e32 v127, v127                               // 00000001C2C0: 7EFE117F
	v_perm_b32 v112, v113, v112, s53                           // 00000001C2C4: D1ED0070 00D6E171
	v_perm_b32 v112, v114, v112, s54                           // 00000001C2CC: D1ED0070 00DAE172
	v_perm_b32 v112, v115, v112, s55                           // 00000001C2D4: D1ED0070 00DEE173
	v_perm_b32 v113, v117, v116, s53                           // 00000001C2DC: D1ED0071 00D6E975
	v_perm_b32 v113, v118, v113, s54                           // 00000001C2E4: D1ED0071 00DAE376
	v_perm_b32 v113, v119, v113, s55                           // 00000001C2EC: D1ED0071 00DEE377
	v_perm_b32 v114, v121, v120, s53                           // 00000001C2F4: D1ED0072 00D6F179
	v_perm_b32 v114, v122, v114, s54                           // 00000001C2FC: D1ED0072 00DAE57A
	v_perm_b32 v114, v123, v114, s55                           // 00000001C304: D1ED0072 00DEE57B
	v_perm_b32 v115, v125, v124, s53                           // 00000001C30C: D1ED0073 00D6F97D
	v_perm_b32 v115, v126, v115, s54                           // 00000001C314: D1ED0073 00DAE77E
	v_perm_b32 v115, v127, v115, s55                           // 00000001C31C: D1ED0073 00DEE77F
	ds_write_b32 v10, v112 offset:25088                        // 00000001C324: D81A6200 0000700A
	ds_write_b32 v10, v113 offset:26112                        // 00000001C32C: D81A6600 0000710A
	ds_write_b32 v10, v114 offset:27136                        // 00000001C334: D81A6A00 0000720A
	ds_write_b32 v10, v115 offset:28160                        // 00000001C33C: D81A6E00 0000730A
	v_add_f32_e32 v208, v208, v176                             // 00000001C344: 03A161D0
	v_add_f32_e32 v209, v209, v177                             // 00000001C348: 03A363D1
	v_add_f32_e32 v210, v210, v178                             // 00000001C34C: 03A565D2
	v_add_f32_e32 v211, v211, v179                             // 00000001C350: 03A767D3
	v_add_f32_e32 v212, v212, v180                             // 00000001C354: 03A969D4
	v_add_f32_e32 v213, v213, v181                             // 00000001C358: 03AB6BD5
	v_add_f32_e32 v214, v214, v182                             // 00000001C35C: 03AD6DD6
	v_add_f32_e32 v215, v215, v183                             // 00000001C360: 03AF6FD7
	v_rcp_f32_e32 v44, v48                                     // 00000001C364: 7E584530
	s_waitcnt lgkmcnt(0)                                       // 00000001C368: BF8CC07F
	s_barrier                                                  // 00000001C36C: BF8A0000
	ds_read_b64 v[112:113], v9 offset:25088                    // 00000001C370: D8EC6200 70000009
	ds_read_b64 v[114:115], v9 offset:25216                    // 00000001C378: D8EC6280 72000009
	ds_read_b64 v[116:117], v9 offset:26112                    // 00000001C380: D8EC6600 74000009
	ds_read_b64 v[118:119], v9 offset:26240                    // 00000001C388: D8EC6680 76000009
	ds_read_b64 v[120:121], v9 offset:27136                    // 00000001C390: D8EC6A00 78000009
	ds_read_b64 v[122:123], v9 offset:27264                    // 00000001C398: D8EC6A80 7A000009
	ds_read_b64 v[124:125], v9 offset:28160                    // 00000001C3A0: D8EC6E00 7C000009
	ds_read_b64 v[126:127], v9 offset:28288                    // 00000001C3A8: D8EC6E80 7E000009
	v_mov_b32_dpp v64, v42 row_shr:4 row_mask:0xf bank_mask:0xf// 00000001C3B0: 7E8002FA FF01142A
	v_mov_b32_dpp v65, v42 row_shl:4 row_mask:0xf bank_mask:0xf// 00000001C3B8: 7E8202FA FF01042A
	v_cndmask_b32_e64 v248, v42, v64, s[44:45]                 // 00000001C3C0: D10000F8 00B2812A
	v_cndmask_b32_e64 v249, v65, v42, s[44:45]                 // 00000001C3C8: D10000F9 00B25541
	v_mov_b32_dpp v64, v248 row_shr:8 row_mask:0xf bank_mask:0xf// 00000001C3D0: 7E8002FA FF0118F8
	v_mov_b32_dpp v65, v248 row_shl:8 row_mask:0xf bank_mask:0xf// 00000001C3D8: 7E8202FA FF0108F8
	v_mov_b32_dpp v66, v249 row_shr:8 row_mask:0xf bank_mask:0xf// 00000001C3E0: 7E8402FA FF0118F9
	v_mov_b32_dpp v67, v249 row_shl:8 row_mask:0xf bank_mask:0xf// 00000001C3E8: 7E8602FA FF0108F9
	v_mov_b32_e32 v68, v248                                    // 00000001C3F0: 7E8803F8
	v_mov_b32_e32 v69, v249                                    // 00000001C3F4: 7E8A03F9
	v_cndmask_b32_e64 v248, v68, v64, s[42:43]                 // 00000001C3F8: D10000F8 00AA8144
	v_cndmask_b32_e64 v250, v68, v65, s[78:79]                 // 00000001C400: D10000FA 013A8344
	v_cndmask_b32_e64 v249, v69, v66, s[42:43]                 // 00000001C408: D10000F9 00AA8545
	v_cndmask_b32_e64 v251, v69, v67, s[78:79]                 // 00000001C410: D10000FB 013A8745
	v_mov_b32_dpp v64, v57 row_shr:4 row_mask:0xf bank_mask:0xf// 00000001C418: 7E8002FA FF011439
	v_mov_b32_dpp v65, v57 row_shl:4 row_mask:0xf bank_mask:0xf// 00000001C420: 7E8202FA FF010439
	v_cndmask_b32_e64 v252, v57, v64, s[44:45]                 // 00000001C428: D10000FC 00B28139
	v_cndmask_b32_e64 v253, v65, v57, s[44:45]                 // 00000001C430: D10000FD 00B27341
	v_mov_b32_dpp v64, v252 row_shr:8 row_mask:0xf bank_mask:0xf// 00000001C438: 7E8002FA FF0118FC
	v_mov_b32_dpp v65, v252 row_shl:8 row_mask:0xf bank_mask:0xf// 00000001C440: 7E8202FA FF0108FC
	v_mov_b32_dpp v66, v253 row_shr:8 row_mask:0xf bank_mask:0xf// 00000001C448: 7E8402FA FF0118FD
	v_mov_b32_dpp v67, v253 row_shl:8 row_mask:0xf bank_mask:0xf// 00000001C450: 7E8602FA FF0108FD
	v_mov_b32_e32 v68, v252                                    // 00000001C458: 7E8803FC
	v_mov_b32_e32 v69, v253                                    // 00000001C45C: 7E8A03FD
	v_cndmask_b32_e64 v252, v68, v64, s[42:43]                 // 00000001C460: D10000FC 00AA8144
	v_cndmask_b32_e64 v254, v68, v65, s[78:79]                 // 00000001C468: D10000FE 013A8344
	v_cndmask_b32_e64 v253, v69, v66, s[42:43]                 // 00000001C470: D10000FD 00AA8545
	v_cndmask_b32_e64 v255, v69, v67, s[78:79]                 // 00000001C478: D10000FF 013A8745
	v_cvt_f32_i32_e32 v128, v128                               // 00000001C480: 7F000B80
	v_cvt_f32_i32_e32 v129, v129                               // 00000001C484: 7F020B81
	v_cvt_f32_i32_e32 v130, v130                               // 00000001C488: 7F040B82
	v_cvt_f32_i32_e32 v131, v131                               // 00000001C48C: 7F060B83
	v_cvt_f32_i32_e32 v132, v132                               // 00000001C490: 7F080B84
	v_cvt_f32_i32_e32 v133, v133                               // 00000001C494: 7F0A0B85
	v_cvt_f32_i32_e32 v134, v134                               // 00000001C498: 7F0C0B86
	v_cvt_f32_i32_e32 v135, v135                               // 00000001C49C: 7F0E0B87
	v_cvt_f32_i32_e32 v136, v136                               // 00000001C4A0: 7F100B88
	v_cvt_f32_i32_e32 v137, v137                               // 00000001C4A4: 7F120B89
	v_cvt_f32_i32_e32 v138, v138                               // 00000001C4A8: 7F140B8A
	v_cvt_f32_i32_e32 v139, v139                               // 00000001C4AC: 7F160B8B
	v_cvt_f32_i32_e32 v140, v140                               // 00000001C4B0: 7F180B8C
	v_cvt_f32_i32_e32 v141, v141                               // 00000001C4B4: 7F1A0B8D
	v_cvt_f32_i32_e32 v142, v142                               // 00000001C4B8: 7F1C0B8E
	v_cvt_f32_i32_e32 v143, v143                               // 00000001C4BC: 7F1E0B8F
	v_mul_f32_e32 v128, v19, v128                              // 00000001C4C0: 0B010113
	v_mul_f32_e32 v129, v19, v129                              // 00000001C4C4: 0B030313
	v_mul_f32_e32 v130, v19, v130                              // 00000001C4C8: 0B050513
	v_mul_f32_e32 v131, v19, v131                              // 00000001C4CC: 0B070713
	v_mul_f32_e32 v132, v19, v132                              // 00000001C4D0: 0B090913
	v_mul_f32_e32 v133, v19, v133                              // 00000001C4D4: 0B0B0B13
	v_mul_f32_e32 v134, v19, v134                              // 00000001C4D8: 0B0D0D13
	v_mul_f32_e32 v135, v19, v135                              // 00000001C4DC: 0B0F0F13
	v_mul_f32_e32 v136, v19, v136                              // 00000001C4E0: 0B111113
	v_mul_f32_e32 v137, v19, v137                              // 00000001C4E4: 0B131313
	v_mul_f32_e32 v138, v19, v138                              // 00000001C4E8: 0B151513
	v_mul_f32_e32 v139, v19, v139                              // 00000001C4EC: 0B171713
	v_mul_f32_e32 v140, v19, v140                              // 00000001C4F0: 0B191913
	v_mul_f32_e32 v141, v19, v141                              // 00000001C4F4: 0B1B1B13
	v_mul_f32_e32 v142, v19, v142                              // 00000001C4F8: 0B1D1D13
	v_mul_f32_e32 v143, v19, v143                              // 00000001C4FC: 0B1F1F13
	v_mul_f32_dpp v128, v248, v128 quad_perm:[0,0,0,0] row_mask:0xf bank_mask:0xf// 00000001C500: 0B0100FA FF0000F8
	v_mul_f32_dpp v129, v248, v129 quad_perm:[1,1,1,1] row_mask:0xf bank_mask:0xf// 00000001C508: 0B0302FA FF0055F8
	v_mul_f32_dpp v130, v248, v130 quad_perm:[2,2,2,2] row_mask:0xf bank_mask:0xf// 00000001C510: 0B0504FA FF00AAF8
	v_mul_f32_dpp v131, v248, v131 quad_perm:[3,3,3,3] row_mask:0xf bank_mask:0xf// 00000001C518: 0B0706FA FF00FFF8
	v_mul_f32_dpp v132, v249, v132 quad_perm:[0,0,0,0] row_mask:0xf bank_mask:0xf// 00000001C520: 0B0908FA FF0000F9
	v_mul_f32_dpp v133, v249, v133 quad_perm:[1,1,1,1] row_mask:0xf bank_mask:0xf// 00000001C528: 0B0B0AFA FF0055F9
	v_mul_f32_dpp v134, v249, v134 quad_perm:[2,2,2,2] row_mask:0xf bank_mask:0xf// 00000001C530: 0B0D0CFA FF00AAF9
	v_mul_f32_dpp v135, v249, v135 quad_perm:[3,3,3,3] row_mask:0xf bank_mask:0xf// 00000001C538: 0B0F0EFA FF00FFF9
	v_mul_f32_dpp v136, v250, v136 quad_perm:[0,0,0,0] row_mask:0xf bank_mask:0xf// 00000001C540: 0B1110FA FF0000FA
	v_mul_f32_dpp v137, v250, v137 quad_perm:[1,1,1,1] row_mask:0xf bank_mask:0xf// 00000001C548: 0B1312FA FF0055FA
	v_mul_f32_dpp v138, v250, v138 quad_perm:[2,2,2,2] row_mask:0xf bank_mask:0xf// 00000001C550: 0B1514FA FF00AAFA
	v_mul_f32_dpp v139, v250, v139 quad_perm:[3,3,3,3] row_mask:0xf bank_mask:0xf// 00000001C558: 0B1716FA FF00FFFA
	v_mul_f32_dpp v140, v251, v140 quad_perm:[0,0,0,0] row_mask:0xf bank_mask:0xf// 00000001C560: 0B1918FA FF0000FB
	v_mul_f32_dpp v141, v251, v141 quad_perm:[1,1,1,1] row_mask:0xf bank_mask:0xf// 00000001C568: 0B1B1AFA FF0055FB
	v_mul_f32_dpp v142, v251, v142 quad_perm:[2,2,2,2] row_mask:0xf bank_mask:0xf// 00000001C570: 0B1D1CFA FF00AAFB
	v_mul_f32_dpp v143, v251, v143 quad_perm:[3,3,3,3] row_mask:0xf bank_mask:0xf// 00000001C578: 0B1F1EFA FF00FFFB
	v_mov_b32_e32 v48, v128                                    // 00000001C580: 7E600380
	v_max3_f32 v48, v128, v129, v48                            // 00000001C584: D1D30030 04C30380
	v_max3_f32 v48, v130, v131, v48                            // 00000001C58C: D1D30030 04C30782
	v_max3_f32 v48, v132, v133, v48                            // 00000001C594: D1D30030 04C30B84
	v_max3_f32 v48, v134, v135, v48                            // 00000001C59C: D1D30030 04C30F86
	v_max3_f32 v48, v136, v137, v48                            // 00000001C5A4: D1D30030 04C31388
	v_max3_f32 v48, v138, v139, v48                            // 00000001C5AC: D1D30030 04C3178A
	v_max3_f32 v48, v140, v141, v48                            // 00000001C5B4: D1D30030 04C31B8C
	v_max3_f32 v48, v142, v143, v48                            // 00000001C5BC: D1D30030 04C31F8E
	ds_write_b32 v8, v48 offset:16896                          // 00000001C5C4: D81A4200 00003008
	v_mul_f32_e32 v216, v50, v216                              // 00000001C5CC: 0BB1B132
	v_mul_f32_e32 v217, v50, v217                              // 00000001C5D0: 0BB3B332
	v_mul_f32_e32 v218, v50, v218                              // 00000001C5D4: 0BB5B532
	v_mul_f32_e32 v219, v50, v219                              // 00000001C5D8: 0BB7B732
	v_mul_f32_e32 v220, v50, v220                              // 00000001C5DC: 0BB9B932
	v_mul_f32_e32 v221, v50, v221                              // 00000001C5E0: 0BBBBB32
	v_mul_f32_e32 v222, v50, v222                              // 00000001C5E4: 0BBDBD32
	v_mul_f32_e32 v223, v50, v223                              // 00000001C5E8: 0BBFBF32
	s_waitcnt lgkmcnt(0)                                       // 00000001C5EC: BF8CC07F
	s_barrier                                                  // 00000001C5F0: BF8A0000
	ds_read_b32 v64, v7 offset:16896                           // 00000001C5F4: D86C4200 40000007
	ds_read_b32 v65, v7 offset:16960                           // 00000001C5FC: D86C4240 41000007
	ds_read_b32 v66, v7 offset:17024                           // 00000001C604: D86C4280 42000007
	ds_read_b32 v67, v7 offset:17088                           // 00000001C60C: D86C42C0 43000007
	ds_read_b32 v68, v7 offset:17152                           // 00000001C614: D86C4300 44000007
	ds_read_b32 v69, v7 offset:17216                           // 00000001C61C: D86C4340 45000007
	ds_read_b32 v70, v7 offset:17280                           // 00000001C624: D86C4380 46000007
	ds_read_b32 v71, v7 offset:17344                           // 00000001C62C: D86C43C0 47000007
	ds_read_b32 v72, v7 offset:17408                           // 00000001C634: D86C4400 48000007
	ds_read_b32 v73, v7 offset:17472                           // 00000001C63C: D86C4440 49000007
	ds_read_b32 v74, v7 offset:17536                           // 00000001C644: D86C4480 4A000007
	ds_read_b32 v75, v7 offset:17600                           // 00000001C64C: D86C44C0 4B000007
	ds_read_b32 v76, v7 offset:17664                           // 00000001C654: D86C4500 4C000007
	ds_read_b32 v77, v7 offset:17728                           // 00000001C65C: D86C4540 4D000007
	ds_read_b32 v78, v7 offset:17792                           // 00000001C664: D86C4580 4E000007
	ds_read_b32 v79, v7 offset:17856                           // 00000001C66C: D86C45C0 4F000007
	v_cvt_f32_i32_e32 v184, v184                               // 00000001C674: 7F700BB8
	v_cvt_f32_i32_e32 v185, v185                               // 00000001C678: 7F720BB9
	v_cvt_f32_i32_e32 v186, v186                               // 00000001C67C: 7F740BBA
	v_cvt_f32_i32_e32 v187, v187                               // 00000001C680: 7F760BBB
	v_cvt_f32_i32_e32 v188, v188                               // 00000001C684: 7F780BBC
	v_cvt_f32_i32_e32 v189, v189                               // 00000001C688: 7F7A0BBD
	v_cvt_f32_i32_e32 v190, v190                               // 00000001C68C: 7F7C0BBE
	v_cvt_f32_i32_e32 v191, v191                               // 00000001C690: 7F7E0BBF
	v_mul_f32_e32 v184, v45, v184                              // 00000001C694: 0B71712D
	v_mul_f32_e32 v185, v45, v185                              // 00000001C698: 0B73732D
	v_mul_f32_e32 v186, v45, v186                              // 00000001C69C: 0B75752D
	v_mul_f32_e32 v187, v45, v187                              // 00000001C6A0: 0B77772D
	v_mul_f32_e32 v188, v45, v188                              // 00000001C6A4: 0B79792D
	v_mul_f32_e32 v189, v45, v189                              // 00000001C6A8: 0B7B7B2D
	v_mul_f32_e32 v190, v45, v190                              // 00000001C6AC: 0B7D7D2D
	v_mul_f32_e32 v191, v45, v191                              // 00000001C6B0: 0B7F7F2D
	s_waitcnt lgkmcnt(0)                                       // 00000001C6B4: BF8CC07F
	v_max3_f32 v48, v64, v65, v48                              // 00000001C6B8: D1D30030 04C28340
	v_max3_f32 v48, v66, v67, v48                              // 00000001C6C0: D1D30030 04C28742
	v_max3_f32 v48, v68, v69, v48                              // 00000001C6C8: D1D30030 04C28B44
	v_max3_f32 v48, v70, v71, v48                              // 00000001C6D0: D1D30030 04C28F46
	v_max3_f32 v48, v72, v73, v48                              // 00000001C6D8: D1D30030 04C29348
	v_max3_f32 v48, v74, v75, v48                              // 00000001C6E0: D1D30030 04C2974A
	v_max3_f32 v48, v76, v77, v48                              // 00000001C6E8: D1D30030 04C29B4C
	v_max3_f32 v48, v78, v79, v48                              // 00000001C6F0: D1D30030 04C29F4E
	v_mov_b32_e32 v64, 0xff800000                              // 00000001C6F8: 7E8002FF FF800000
	v_cmp_eq_u32_e64 s[40:41], v64, v12                        // 00000001C700: D0CA0028 00021940
	s_nop 1                                                    // 00000001C708: BF800001
	v_max_f32_e32 v15, v48, v12                                // 00000001C70C: 161E1930
	v_mul_f32_e32 v53, s64, v15                                // 00000001C710: 0A6A1E40
	v_fma_f32 v128, v128, s64, -v53                            // 00000001C714: D1CB0080 84D48180
	v_fma_f32 v129, v129, s64, -v53                            // 00000001C71C: D1CB0081 84D48181
	v_fma_f32 v130, v130, s64, -v53                            // 00000001C724: D1CB0082 84D48182
	v_fma_f32 v131, v131, s64, -v53                            // 00000001C72C: D1CB0083 84D48183
	v_fma_f32 v132, v132, s64, -v53                            // 00000001C734: D1CB0084 84D48184
	v_fma_f32 v133, v133, s64, -v53                            // 00000001C73C: D1CB0085 84D48185
	v_fma_f32 v134, v134, s64, -v53                            // 00000001C744: D1CB0086 84D48186
	v_fma_f32 v135, v135, s64, -v53                            // 00000001C74C: D1CB0087 84D48187
	v_fma_f32 v136, v136, s64, -v53                            // 00000001C754: D1CB0088 84D48188
	v_fma_f32 v137, v137, s64, -v53                            // 00000001C75C: D1CB0089 84D48189
	v_fma_f32 v138, v138, s64, -v53                            // 00000001C764: D1CB008A 84D4818A
	v_fma_f32 v139, v139, s64, -v53                            // 00000001C76C: D1CB008B 84D4818B
	v_fma_f32 v140, v140, s64, -v53                            // 00000001C774: D1CB008C 84D4818C
	v_fma_f32 v141, v141, s64, -v53                            // 00000001C77C: D1CB008D 84D4818D
	v_fma_f32 v142, v142, s64, -v53                            // 00000001C784: D1CB008E 84D4818E
	v_fma_f32 v143, v143, s64, -v53                            // 00000001C78C: D1CB008F 84D4818F
	v_exp_f32_e32 v128, v128                                   // 00000001C794: 7F004180
	v_exp_f32_e32 v129, v129                                   // 00000001C798: 7F024181
	v_exp_f32_e32 v130, v130                                   // 00000001C79C: 7F044182
	v_exp_f32_e32 v131, v131                                   // 00000001C7A0: 7F064183
	v_exp_f32_e32 v132, v132                                   // 00000001C7A4: 7F084184
	v_exp_f32_e32 v133, v133                                   // 00000001C7A8: 7F0A4185
	v_exp_f32_e32 v134, v134                                   // 00000001C7AC: 7F0C4186
	v_exp_f32_e32 v135, v135                                   // 00000001C7B0: 7F0E4187
	v_exp_f32_e32 v136, v136                                   // 00000001C7B4: 7F104188
	v_exp_f32_e32 v137, v137                                   // 00000001C7B8: 7F124189
	v_exp_f32_e32 v138, v138                                   // 00000001C7BC: 7F14418A
	v_exp_f32_e32 v139, v139                                   // 00000001C7C0: 7F16418B
	v_exp_f32_e32 v140, v140                                   // 00000001C7C4: 7F18418C
	v_exp_f32_e32 v141, v141                                   // 00000001C7C8: 7F1A418D
	v_exp_f32_e32 v142, v142                                   // 00000001C7CC: 7F1C418E
	v_exp_f32_e32 v143, v143                                   // 00000001C7D0: 7F1E418F
	v_mul_f32_dpp v240, v252, v128 quad_perm:[0,0,0,0] row_mask:0xf bank_mask:0xf// 00000001C7D4: 0BE100FA FF0000FC
	v_mul_f32_dpp v241, v252, v129 quad_perm:[1,1,1,1] row_mask:0xf bank_mask:0xf// 00000001C7DC: 0BE302FA FF0055FC
	v_mul_f32_dpp v242, v252, v130 quad_perm:[2,2,2,2] row_mask:0xf bank_mask:0xf// 00000001C7E4: 0BE504FA FF00AAFC
	v_mul_f32_dpp v243, v252, v131 quad_perm:[3,3,3,3] row_mask:0xf bank_mask:0xf// 00000001C7EC: 0BE706FA FF00FFFC
	v_mul_f32_dpp v244, v253, v132 quad_perm:[0,0,0,0] row_mask:0xf bank_mask:0xf// 00000001C7F4: 0BE908FA FF0000FD
	v_mul_f32_dpp v245, v253, v133 quad_perm:[1,1,1,1] row_mask:0xf bank_mask:0xf// 00000001C7FC: 0BEB0AFA FF0055FD
	v_mul_f32_dpp v246, v253, v134 quad_perm:[2,2,2,2] row_mask:0xf bank_mask:0xf// 00000001C804: 0BED0CFA FF00AAFD
	v_mul_f32_dpp v247, v253, v135 quad_perm:[3,3,3,3] row_mask:0xf bank_mask:0xf// 00000001C80C: 0BEF0EFA FF00FFFD
	v_mul_f32_dpp v248, v254, v136 quad_perm:[0,0,0,0] row_mask:0xf bank_mask:0xf// 00000001C814: 0BF110FA FF0000FE
	v_mul_f32_dpp v249, v254, v137 quad_perm:[1,1,1,1] row_mask:0xf bank_mask:0xf// 00000001C81C: 0BF312FA FF0055FE
	v_mul_f32_dpp v250, v254, v138 quad_perm:[2,2,2,2] row_mask:0xf bank_mask:0xf// 00000001C824: 0BF514FA FF00AAFE
	v_mul_f32_dpp v251, v254, v139 quad_perm:[3,3,3,3] row_mask:0xf bank_mask:0xf// 00000001C82C: 0BF716FA FF00FFFE
	v_mul_f32_dpp v252, v255, v140 quad_perm:[0,0,0,0] row_mask:0xf bank_mask:0xf// 00000001C834: 0BF918FA FF0000FF
	v_mul_f32_dpp v253, v255, v141 quad_perm:[1,1,1,1] row_mask:0xf bank_mask:0xf// 00000001C83C: 0BFB1AFA FF0055FF
	v_mul_f32_dpp v254, v255, v142 quad_perm:[2,2,2,2] row_mask:0xf bank_mask:0xf// 00000001C844: 0BFD1CFA FF00AAFF
	v_mul_f32_dpp v255, v255, v143 quad_perm:[3,3,3,3] row_mask:0xf bank_mask:0xf// 00000001C84C: 0BFF1EFA FF00FFFF
	v_mov_b32_e32 v48, 0x358637bd                              // 00000001C854: 7E6002FF 358637BD
	v_max3_f32 v48, |v240|, |v241|, v48                        // 00000001C85C: D1D30330 04C3E3F0
	v_max3_f32 v48, |v242|, |v243|, v48                        // 00000001C864: D1D30330 04C3E7F2
	v_max3_f32 v48, |v244|, |v245|, v48                        // 00000001C86C: D1D30330 04C3EBF4
	v_max3_f32 v48, |v246|, |v247|, v48                        // 00000001C874: D1D30330 04C3EFF6
	v_max3_f32 v48, |v248|, |v249|, v48                        // 00000001C87C: D1D30330 04C3F3F8
	v_max3_f32 v48, |v250|, |v251|, v48                        // 00000001C884: D1D30330 04C3F7FA
	v_max3_f32 v48, |v252|, |v253|, v48                        // 00000001C88C: D1D30330 04C3FBFC
	v_max3_f32 v48, |v254|, |v255|, v48                        // 00000001C894: D1D30330 04C3FFFE
	ds_write_b32 v8, v48 offset:20992                          // 00000001C89C: D81A5200 00003008
	v_sub_f32_e32 v50, v12, v15                                // 00000001C8A4: 04641F0C
	v_cndmask_b32_e64 v50, v50, 0, s[40:41]                    // 00000001C8A8: D1000032 00A10132
	v_mov_b32_e32 v12, v15                                     // 00000001C8B0: 7E18030F
	v_mul_f32_e32 v50, s64, v50                                // 00000001C8B4: 0A646440
	v_exp_f32_e32 v50, v50                                     // 00000001C8B8: 7E644132
	s_waitcnt lgkmcnt(0)                                       // 00000001C8BC: BF8CC07F
	s_barrier                                                  // 00000001C8C0: BF8A0000
	ds_read_b32 v64, v7 offset:20992                           // 00000001C8C4: D86C5200 40000007
	ds_read_b32 v65, v7 offset:21056                           // 00000001C8CC: D86C5240 41000007
	ds_read_b32 v66, v7 offset:21120                           // 00000001C8D4: D86C5280 42000007
	ds_read_b32 v67, v7 offset:21184                           // 00000001C8DC: D86C52C0 43000007
	ds_read_b32 v68, v7 offset:21248                           // 00000001C8E4: D86C5300 44000007
	ds_read_b32 v69, v7 offset:21312                           // 00000001C8EC: D86C5340 45000007
	ds_read_b32 v70, v7 offset:21376                           // 00000001C8F4: D86C5380 46000007
	ds_read_b32 v71, v7 offset:21440                           // 00000001C8FC: D86C53C0 47000007
	ds_read_b32 v72, v7 offset:21504                           // 00000001C904: D86C5400 48000007
	ds_read_b32 v73, v7 offset:21568                           // 00000001C90C: D86C5440 49000007
	ds_read_b32 v74, v7 offset:21632                           // 00000001C914: D86C5480 4A000007
	ds_read_b32 v75, v7 offset:21696                           // 00000001C91C: D86C54C0 4B000007
	ds_read_b32 v76, v7 offset:21760                           // 00000001C924: D86C5500 4C000007
	ds_read_b32 v77, v7 offset:21824                           // 00000001C92C: D86C5540 4D000007
	ds_read_b32 v78, v7 offset:21888                           // 00000001C934: D86C5580 4E000007
	ds_read_b32 v79, v7 offset:21952                           // 00000001C93C: D86C55C0 4F000007
	v_mul_f32_e32 v39, v50, v39                                // 00000001C944: 0A4E4F32
	v_mov_b32_e32 v15, v128                                    // 00000001C948: 7E1E0380
	v_add_f32_e32 v15, v129, v15                               // 00000001C94C: 021E1F81
	v_add_f32_e32 v15, v130, v15                               // 00000001C950: 021E1F82
	v_add_f32_e32 v15, v131, v15                               // 00000001C954: 021E1F83
	v_add_f32_e32 v15, v132, v15                               // 00000001C958: 021E1F84
	v_add_f32_e32 v15, v133, v15                               // 00000001C95C: 021E1F85
	v_add_f32_e32 v15, v134, v15                               // 00000001C960: 021E1F86
	v_add_f32_e32 v15, v135, v15                               // 00000001C964: 021E1F87
	v_add_f32_e32 v15, v136, v15                               // 00000001C968: 021E1F88
	v_add_f32_e32 v15, v137, v15                               // 00000001C96C: 021E1F89
	v_add_f32_e32 v15, v138, v15                               // 00000001C970: 021E1F8A
	v_add_f32_e32 v15, v139, v15                               // 00000001C974: 021E1F8B
	v_add_f32_e32 v15, v140, v15                               // 00000001C978: 021E1F8C
	v_add_f32_e32 v15, v141, v15                               // 00000001C97C: 021E1F8D
	v_add_f32_e32 v15, v142, v15                               // 00000001C980: 021E1F8E
	v_add_f32_e32 v15, v143, v15                               // 00000001C984: 021E1F8F
	v_add_f32_e32 v39, v15, v39                                // 00000001C988: 024E4F0F
	s_waitcnt lgkmcnt(0)                                       // 00000001C98C: BF8CC07F
	v_max3_f32 v48, |v64|, |v65|, v48                          // 00000001C990: D1D30330 04C28340
	v_max3_f32 v48, |v66|, |v67|, v48                          // 00000001C998: D1D30330 04C28742
	v_max3_f32 v48, |v68|, |v69|, v48                          // 00000001C9A0: D1D30330 04C28B44
	v_max3_f32 v48, |v70|, |v71|, v48                          // 00000001C9A8: D1D30330 04C28F46
	v_max3_f32 v48, |v72|, |v73|, v48                          // 00000001C9B0: D1D30330 04C29348
	v_max3_f32 v48, |v74|, |v75|, v48                          // 00000001C9B8: D1D30330 04C2974A
	v_max3_f32 v48, |v76|, |v77|, v48                          // 00000001C9C0: D1D30330 04C29B4C
	v_max3_f32 v48, |v78|, |v79|, v48                          // 00000001C9C8: D1D30330 04C29F4E
	s_nop 2                                                    // 00000001C9D0: BF800002
	v_rcp_f32_e32 v48, v48                                     // 00000001C9D4: 7E604530
	s_nop 1                                                    // 00000001C9D8: BF800001
	v_mul_f32_e32 v48, 0x42fe0000, v48                         // 00000001C9DC: 0A6060FF 42FE0000
	v_mul_f32_e32 v128, v48, v240                              // 00000001C9E4: 0B01E130
	v_mul_f32_e32 v129, v48, v241                              // 00000001C9E8: 0B03E330
	v_mul_f32_e32 v130, v48, v242                              // 00000001C9EC: 0B05E530
	v_mul_f32_e32 v131, v48, v243                              // 00000001C9F0: 0B07E730
	v_mul_f32_e32 v132, v48, v244                              // 00000001C9F4: 0B09E930
	v_mul_f32_e32 v133, v48, v245                              // 00000001C9F8: 0B0BEB30
	v_mul_f32_e32 v134, v48, v246                              // 00000001C9FC: 0B0DED30
	v_mul_f32_e32 v135, v48, v247                              // 00000001CA00: 0B0FEF30
	v_mul_f32_e32 v136, v48, v248                              // 00000001CA04: 0B11F130
	v_mul_f32_e32 v137, v48, v249                              // 00000001CA08: 0B13F330
	v_mul_f32_e32 v138, v48, v250                              // 00000001CA0C: 0B15F530
	v_mul_f32_e32 v139, v48, v251                              // 00000001CA10: 0B17F730
	v_mul_f32_e32 v140, v48, v252                              // 00000001CA14: 0B19F930
	v_mul_f32_e32 v141, v48, v253                              // 00000001CA18: 0B1BFB30
	v_mul_f32_e32 v142, v48, v254                              // 00000001CA1C: 0B1DFD30
	v_mul_f32_e32 v143, v48, v255                              // 00000001CA20: 0B1FFF30
	v_cvt_i32_f32_e32 v128, v128                               // 00000001CA24: 7F001180
	v_cvt_i32_f32_e32 v129, v129                               // 00000001CA28: 7F021181
	v_cvt_i32_f32_e32 v130, v130                               // 00000001CA2C: 7F041182
	v_cvt_i32_f32_e32 v131, v131                               // 00000001CA30: 7F061183
	v_cvt_i32_f32_e32 v132, v132                               // 00000001CA34: 7F081184
	v_cvt_i32_f32_e32 v133, v133                               // 00000001CA38: 7F0A1185
	v_cvt_i32_f32_e32 v134, v134                               // 00000001CA3C: 7F0C1186
	v_cvt_i32_f32_e32 v135, v135                               // 00000001CA40: 7F0E1187
	v_cvt_i32_f32_e32 v136, v136                               // 00000001CA44: 7F101188
	v_cvt_i32_f32_e32 v137, v137                               // 00000001CA48: 7F121189
	v_cvt_i32_f32_e32 v138, v138                               // 00000001CA4C: 7F14118A
	v_cvt_i32_f32_e32 v139, v139                               // 00000001CA50: 7F16118B
	v_cvt_i32_f32_e32 v140, v140                               // 00000001CA54: 7F18118C
	v_cvt_i32_f32_e32 v141, v141                               // 00000001CA58: 7F1A118D
	v_cvt_i32_f32_e32 v142, v142                               // 00000001CA5C: 7F1C118E
	v_cvt_i32_f32_e32 v143, v143                               // 00000001CA60: 7F1E118F
	v_perm_b32 v128, v129, v128, s53                           // 00000001CA64: D1ED0080 00D70181
	v_perm_b32 v128, v130, v128, s54                           // 00000001CA6C: D1ED0080 00DB0182
	v_perm_b32 v128, v131, v128, s55                           // 00000001CA74: D1ED0080 00DF0183
	v_perm_b32 v129, v133, v132, s53                           // 00000001CA7C: D1ED0081 00D70985
	v_perm_b32 v129, v134, v129, s54                           // 00000001CA84: D1ED0081 00DB0386
	v_perm_b32 v129, v135, v129, s55                           // 00000001CA8C: D1ED0081 00DF0387
	v_perm_b32 v130, v137, v136, s53                           // 00000001CA94: D1ED0082 00D71189
	v_perm_b32 v130, v138, v130, s54                           // 00000001CA9C: D1ED0082 00DB058A
	v_perm_b32 v130, v139, v130, s55                           // 00000001CAA4: D1ED0082 00DF058B
	v_perm_b32 v131, v141, v140, s53                           // 00000001CAAC: D1ED0083 00D7198D
	v_perm_b32 v131, v142, v131, s54                           // 00000001CAB4: D1ED0083 00DB078E
	v_perm_b32 v131, v143, v131, s55                           // 00000001CABC: D1ED0083 00DF078F
	ds_write_b32 v10, v128 offset:29184                        // 00000001CAC4: D81A7200 0000800A
	ds_write_b32 v10, v129 offset:30208                        // 00000001CACC: D81A7600 0000810A
	ds_write_b32 v10, v130 offset:31232                        // 00000001CAD4: D81A7A00 0000820A
	ds_write_b32 v10, v131 offset:32256                        // 00000001CADC: D81A7E00 0000830A
	v_add_f32_e32 v216, v216, v184                             // 00000001CAE4: 03B171D8
	v_add_f32_e32 v217, v217, v185                             // 00000001CAE8: 03B373D9
	v_add_f32_e32 v218, v218, v186                             // 00000001CAEC: 03B575DA
	v_add_f32_e32 v219, v219, v187                             // 00000001CAF0: 03B777DB
	v_add_f32_e32 v220, v220, v188                             // 00000001CAF4: 03B979DC
	v_add_f32_e32 v221, v221, v189                             // 00000001CAF8: 03BB7BDD
	v_add_f32_e32 v222, v222, v190                             // 00000001CAFC: 03BD7DDE
	v_add_f32_e32 v223, v223, v191                             // 00000001CB00: 03BF7FDF
	v_rcp_f32_e32 v45, v48                                     // 00000001CB04: 7E5A4530
	s_waitcnt lgkmcnt(0)                                       // 00000001CB08: BF8CC07F
	s_barrier                                                  // 00000001CB0C: BF8A0000
	ds_read_b64 v[128:129], v9 offset:29184                    // 00000001CB10: D8EC7200 80000009
	ds_read_b64 v[130:131], v9 offset:29312                    // 00000001CB18: D8EC7280 82000009
	ds_read_b64 v[132:133], v9 offset:30208                    // 00000001CB20: D8EC7600 84000009
	ds_read_b64 v[134:135], v9 offset:30336                    // 00000001CB28: D8EC7680 86000009
	ds_read_b64 v[136:137], v9 offset:31232                    // 00000001CB30: D8EC7A00 88000009
	ds_read_b64 v[138:139], v9 offset:31360                    // 00000001CB38: D8EC7A80 8A000009
	ds_read_b64 v[140:141], v9 offset:32256                    // 00000001CB40: D8EC7E00 8C000009
	ds_read_b64 v[142:143], v9 offset:32384                    // 00000001CB48: D8EC7E80 8E000009
	v_mov_b32_dpp v64, v42 row_shr:4 row_mask:0xf bank_mask:0xf// 00000001CB50: 7E8002FA FF01142A
	v_mov_b32_dpp v65, v42 row_shl:4 row_mask:0xf bank_mask:0xf// 00000001CB58: 7E8202FA FF01042A
	v_cndmask_b32_e64 v248, v42, v64, s[44:45]                 // 00000001CB60: D10000F8 00B2812A
	v_cndmask_b32_e64 v249, v65, v42, s[44:45]                 // 00000001CB68: D10000F9 00B25541
	v_mov_b32_dpp v64, v248 row_shr:8 row_mask:0xf bank_mask:0xf// 00000001CB70: 7E8002FA FF0118F8
	v_mov_b32_dpp v65, v248 row_shl:8 row_mask:0xf bank_mask:0xf// 00000001CB78: 7E8202FA FF0108F8
	v_mov_b32_dpp v66, v249 row_shr:8 row_mask:0xf bank_mask:0xf// 00000001CB80: 7E8402FA FF0118F9
	v_mov_b32_dpp v67, v249 row_shl:8 row_mask:0xf bank_mask:0xf// 00000001CB88: 7E8602FA FF0108F9
	v_mov_b32_e32 v68, v248                                    // 00000001CB90: 7E8803F8
	v_mov_b32_e32 v69, v249                                    // 00000001CB94: 7E8A03F9
	v_cndmask_b32_e64 v248, v68, v64, s[42:43]                 // 00000001CB98: D10000F8 00AA8144
	v_cndmask_b32_e64 v250, v68, v65, s[78:79]                 // 00000001CBA0: D10000FA 013A8344
	v_cndmask_b32_e64 v249, v69, v66, s[42:43]                 // 00000001CBA8: D10000F9 00AA8545
	v_cndmask_b32_e64 v251, v69, v67, s[78:79]                 // 00000001CBB0: D10000FB 013A8745
	v_mov_b32_dpp v64, v57 row_shr:4 row_mask:0xf bank_mask:0xf// 00000001CBB8: 7E8002FA FF011439
	v_mov_b32_dpp v65, v57 row_shl:4 row_mask:0xf bank_mask:0xf// 00000001CBC0: 7E8202FA FF010439
	v_cndmask_b32_e64 v252, v57, v64, s[44:45]                 // 00000001CBC8: D10000FC 00B28139
	v_cndmask_b32_e64 v253, v65, v57, s[44:45]                 // 00000001CBD0: D10000FD 00B27341
	v_mov_b32_dpp v64, v252 row_shr:8 row_mask:0xf bank_mask:0xf// 00000001CBD8: 7E8002FA FF0118FC
	v_mov_b32_dpp v65, v252 row_shl:8 row_mask:0xf bank_mask:0xf// 00000001CBE0: 7E8202FA FF0108FC
	v_mov_b32_dpp v66, v253 row_shr:8 row_mask:0xf bank_mask:0xf// 00000001CBE8: 7E8402FA FF0118FD
	v_mov_b32_dpp v67, v253 row_shl:8 row_mask:0xf bank_mask:0xf// 00000001CBF0: 7E8602FA FF0108FD
	v_mov_b32_e32 v68, v252                                    // 00000001CBF8: 7E8803FC
	v_mov_b32_e32 v69, v253                                    // 00000001CBFC: 7E8A03FD
	v_cndmask_b32_e64 v252, v68, v64, s[42:43]                 // 00000001CC00: D10000FC 00AA8144
	v_cndmask_b32_e64 v254, v68, v65, s[78:79]                 // 00000001CC08: D10000FE 013A8344
	v_cndmask_b32_e64 v253, v69, v66, s[42:43]                 // 00000001CC10: D10000FD 00AA8545
	v_cndmask_b32_e64 v255, v69, v67, s[78:79]                 // 00000001CC18: D10000FF 013A8745
	v_cvt_f32_i32_e32 v144, v144                               // 00000001CC20: 7F200B90
	v_cvt_f32_i32_e32 v145, v145                               // 00000001CC24: 7F220B91
	v_cvt_f32_i32_e32 v146, v146                               // 00000001CC28: 7F240B92
	v_cvt_f32_i32_e32 v147, v147                               // 00000001CC2C: 7F260B93
	v_cvt_f32_i32_e32 v148, v148                               // 00000001CC30: 7F280B94
	v_cvt_f32_i32_e32 v149, v149                               // 00000001CC34: 7F2A0B95
	v_cvt_f32_i32_e32 v150, v150                               // 00000001CC38: 7F2C0B96
	v_cvt_f32_i32_e32 v151, v151                               // 00000001CC3C: 7F2E0B97
	v_cvt_f32_i32_e32 v152, v152                               // 00000001CC40: 7F300B98
	v_cvt_f32_i32_e32 v153, v153                               // 00000001CC44: 7F320B99
	v_cvt_f32_i32_e32 v154, v154                               // 00000001CC48: 7F340B9A
	v_cvt_f32_i32_e32 v155, v155                               // 00000001CC4C: 7F360B9B
	v_cvt_f32_i32_e32 v156, v156                               // 00000001CC50: 7F380B9C
	v_cvt_f32_i32_e32 v157, v157                               // 00000001CC54: 7F3A0B9D
	v_cvt_f32_i32_e32 v158, v158                               // 00000001CC58: 7F3C0B9E
	v_cvt_f32_i32_e32 v159, v159                               // 00000001CC5C: 7F3E0B9F
	v_mul_f32_e32 v144, v20, v144                              // 00000001CC60: 0B212114
	v_mul_f32_e32 v145, v20, v145                              // 00000001CC64: 0B232314
	v_mul_f32_e32 v146, v20, v146                              // 00000001CC68: 0B252514
	v_mul_f32_e32 v147, v20, v147                              // 00000001CC6C: 0B272714
	v_mul_f32_e32 v148, v20, v148                              // 00000001CC70: 0B292914
	v_mul_f32_e32 v149, v20, v149                              // 00000001CC74: 0B2B2B14
	v_mul_f32_e32 v150, v20, v150                              // 00000001CC78: 0B2D2D14
	v_mul_f32_e32 v151, v20, v151                              // 00000001CC7C: 0B2F2F14
	v_mul_f32_e32 v152, v20, v152                              // 00000001CC80: 0B313114
	v_mul_f32_e32 v153, v20, v153                              // 00000001CC84: 0B333314
	v_mul_f32_e32 v154, v20, v154                              // 00000001CC88: 0B353514
	v_mul_f32_e32 v155, v20, v155                              // 00000001CC8C: 0B373714
	v_mul_f32_e32 v156, v20, v156                              // 00000001CC90: 0B393914
	v_mul_f32_e32 v157, v20, v157                              // 00000001CC94: 0B3B3B14
	v_mul_f32_e32 v158, v20, v158                              // 00000001CC98: 0B3D3D14
	v_mul_f32_e32 v159, v20, v159                              // 00000001CC9C: 0B3F3F14
	v_mul_f32_dpp v144, v248, v144 quad_perm:[0,0,0,0] row_mask:0xf bank_mask:0xf// 00000001CCA0: 0B2120FA FF0000F8
	v_mul_f32_dpp v145, v248, v145 quad_perm:[1,1,1,1] row_mask:0xf bank_mask:0xf// 00000001CCA8: 0B2322FA FF0055F8
	v_mul_f32_dpp v146, v248, v146 quad_perm:[2,2,2,2] row_mask:0xf bank_mask:0xf// 00000001CCB0: 0B2524FA FF00AAF8
	v_mul_f32_dpp v147, v248, v147 quad_perm:[3,3,3,3] row_mask:0xf bank_mask:0xf// 00000001CCB8: 0B2726FA FF00FFF8
	v_mul_f32_dpp v148, v249, v148 quad_perm:[0,0,0,0] row_mask:0xf bank_mask:0xf// 00000001CCC0: 0B2928FA FF0000F9
	v_mul_f32_dpp v149, v249, v149 quad_perm:[1,1,1,1] row_mask:0xf bank_mask:0xf// 00000001CCC8: 0B2B2AFA FF0055F9
	v_mul_f32_dpp v150, v249, v150 quad_perm:[2,2,2,2] row_mask:0xf bank_mask:0xf// 00000001CCD0: 0B2D2CFA FF00AAF9
	v_mul_f32_dpp v151, v249, v151 quad_perm:[3,3,3,3] row_mask:0xf bank_mask:0xf// 00000001CCD8: 0B2F2EFA FF00FFF9
	v_mul_f32_dpp v152, v250, v152 quad_perm:[0,0,0,0] row_mask:0xf bank_mask:0xf// 00000001CCE0: 0B3130FA FF0000FA
	v_mul_f32_dpp v153, v250, v153 quad_perm:[1,1,1,1] row_mask:0xf bank_mask:0xf// 00000001CCE8: 0B3332FA FF0055FA
	v_mul_f32_dpp v154, v250, v154 quad_perm:[2,2,2,2] row_mask:0xf bank_mask:0xf// 00000001CCF0: 0B3534FA FF00AAFA
	v_mul_f32_dpp v155, v250, v155 quad_perm:[3,3,3,3] row_mask:0xf bank_mask:0xf// 00000001CCF8: 0B3736FA FF00FFFA
	v_mul_f32_dpp v156, v251, v156 quad_perm:[0,0,0,0] row_mask:0xf bank_mask:0xf// 00000001CD00: 0B3938FA FF0000FB
	v_mul_f32_dpp v157, v251, v157 quad_perm:[1,1,1,1] row_mask:0xf bank_mask:0xf// 00000001CD08: 0B3B3AFA FF0055FB
	v_mul_f32_dpp v158, v251, v158 quad_perm:[2,2,2,2] row_mask:0xf bank_mask:0xf// 00000001CD10: 0B3D3CFA FF00AAFB
	v_mul_f32_dpp v159, v251, v159 quad_perm:[3,3,3,3] row_mask:0xf bank_mask:0xf// 00000001CD18: 0B3F3EFA FF00FFFB
	v_mov_b32_e32 v48, v144                                    // 00000001CD20: 7E600390
	v_max3_f32 v48, v144, v145, v48                            // 00000001CD24: D1D30030 04C32390
	v_max3_f32 v48, v146, v147, v48                            // 00000001CD2C: D1D30030 04C32792
	v_max3_f32 v48, v148, v149, v48                            // 00000001CD34: D1D30030 04C32B94
	v_max3_f32 v48, v150, v151, v48                            // 00000001CD3C: D1D30030 04C32F96
	v_max3_f32 v48, v152, v153, v48                            // 00000001CD44: D1D30030 04C33398
	v_max3_f32 v48, v154, v155, v48                            // 00000001CD4C: D1D30030 04C3379A
	v_max3_f32 v48, v156, v157, v48                            // 00000001CD54: D1D30030 04C33B9C
	v_max3_f32 v48, v158, v159, v48                            // 00000001CD5C: D1D30030 04C33F9E
	ds_write_b32 v8, v48 offset:16896                          // 00000001CD64: D81A4200 00003008
	v_mul_f32_e32 v224, v51, v224                              // 00000001CD6C: 0BC1C133
	v_mul_f32_e32 v225, v51, v225                              // 00000001CD70: 0BC3C333
	v_mul_f32_e32 v226, v51, v226                              // 00000001CD74: 0BC5C533
	v_mul_f32_e32 v227, v51, v227                              // 00000001CD78: 0BC7C733
	v_mul_f32_e32 v228, v51, v228                              // 00000001CD7C: 0BC9C933
	v_mul_f32_e32 v229, v51, v229                              // 00000001CD80: 0BCBCB33
	v_mul_f32_e32 v230, v51, v230                              // 00000001CD84: 0BCDCD33
	v_mul_f32_e32 v231, v51, v231                              // 00000001CD88: 0BCFCF33
	s_waitcnt lgkmcnt(0)                                       // 00000001CD8C: BF8CC07F
	s_barrier                                                  // 00000001CD90: BF8A0000
	ds_read_b32 v64, v7 offset:16896                           // 00000001CD94: D86C4200 40000007
	ds_read_b32 v65, v7 offset:16960                           // 00000001CD9C: D86C4240 41000007
	ds_read_b32 v66, v7 offset:17024                           // 00000001CDA4: D86C4280 42000007
	ds_read_b32 v67, v7 offset:17088                           // 00000001CDAC: D86C42C0 43000007
	ds_read_b32 v68, v7 offset:17152                           // 00000001CDB4: D86C4300 44000007
	ds_read_b32 v69, v7 offset:17216                           // 00000001CDBC: D86C4340 45000007
	ds_read_b32 v70, v7 offset:17280                           // 00000001CDC4: D86C4380 46000007
	ds_read_b32 v71, v7 offset:17344                           // 00000001CDCC: D86C43C0 47000007
	ds_read_b32 v72, v7 offset:17408                           // 00000001CDD4: D86C4400 48000007
	ds_read_b32 v73, v7 offset:17472                           // 00000001CDDC: D86C4440 49000007
	ds_read_b32 v74, v7 offset:17536                           // 00000001CDE4: D86C4480 4A000007
	ds_read_b32 v75, v7 offset:17600                           // 00000001CDEC: D86C44C0 4B000007
	ds_read_b32 v76, v7 offset:17664                           // 00000001CDF4: D86C4500 4C000007
	ds_read_b32 v77, v7 offset:17728                           // 00000001CDFC: D86C4540 4D000007
	ds_read_b32 v78, v7 offset:17792                           // 00000001CE04: D86C4580 4E000007
	ds_read_b32 v79, v7 offset:17856                           // 00000001CE0C: D86C45C0 4F000007
	v_cvt_f32_i32_e32 v192, v192                               // 00000001CE14: 7F800BC0
	v_cvt_f32_i32_e32 v193, v193                               // 00000001CE18: 7F820BC1
	v_cvt_f32_i32_e32 v194, v194                               // 00000001CE1C: 7F840BC2
	v_cvt_f32_i32_e32 v195, v195                               // 00000001CE20: 7F860BC3
	v_cvt_f32_i32_e32 v196, v196                               // 00000001CE24: 7F880BC4
	v_cvt_f32_i32_e32 v197, v197                               // 00000001CE28: 7F8A0BC5
	v_cvt_f32_i32_e32 v198, v198                               // 00000001CE2C: 7F8C0BC6
	v_cvt_f32_i32_e32 v199, v199                               // 00000001CE30: 7F8E0BC7
	v_mul_f32_e32 v192, v46, v192                              // 00000001CE34: 0B81812E
	v_mul_f32_e32 v193, v46, v193                              // 00000001CE38: 0B83832E
	v_mul_f32_e32 v194, v46, v194                              // 00000001CE3C: 0B85852E
	v_mul_f32_e32 v195, v46, v195                              // 00000001CE40: 0B87872E
	v_mul_f32_e32 v196, v46, v196                              // 00000001CE44: 0B89892E
	v_mul_f32_e32 v197, v46, v197                              // 00000001CE48: 0B8B8B2E
	v_mul_f32_e32 v198, v46, v198                              // 00000001CE4C: 0B8D8D2E
	v_mul_f32_e32 v199, v46, v199                              // 00000001CE50: 0B8F8F2E
	s_waitcnt lgkmcnt(0)                                       // 00000001CE54: BF8CC07F
	v_max3_f32 v48, v64, v65, v48                              // 00000001CE58: D1D30030 04C28340
	v_max3_f32 v48, v66, v67, v48                              // 00000001CE60: D1D30030 04C28742
	v_max3_f32 v48, v68, v69, v48                              // 00000001CE68: D1D30030 04C28B44
	v_max3_f32 v48, v70, v71, v48                              // 00000001CE70: D1D30030 04C28F46
	v_max3_f32 v48, v72, v73, v48                              // 00000001CE78: D1D30030 04C29348
	v_max3_f32 v48, v74, v75, v48                              // 00000001CE80: D1D30030 04C2974A
	v_max3_f32 v48, v76, v77, v48                              // 00000001CE88: D1D30030 04C29B4C
	v_max3_f32 v48, v78, v79, v48                              // 00000001CE90: D1D30030 04C29F4E
	v_mov_b32_e32 v64, 0xff800000                              // 00000001CE98: 7E8002FF FF800000
	v_cmp_eq_u32_e64 s[40:41], v64, v13                        // 00000001CEA0: D0CA0028 00021B40
	s_nop 1                                                    // 00000001CEA8: BF800001
	v_max_f32_e32 v15, v48, v13                                // 00000001CEAC: 161E1B30
	v_mul_f32_e32 v53, s64, v15                                // 00000001CEB0: 0A6A1E40
	v_fma_f32 v144, v144, s64, -v53                            // 00000001CEB4: D1CB0090 84D48190
	v_fma_f32 v145, v145, s64, -v53                            // 00000001CEBC: D1CB0091 84D48191
	v_fma_f32 v146, v146, s64, -v53                            // 00000001CEC4: D1CB0092 84D48192
	v_fma_f32 v147, v147, s64, -v53                            // 00000001CECC: D1CB0093 84D48193
	v_fma_f32 v148, v148, s64, -v53                            // 00000001CED4: D1CB0094 84D48194
	v_fma_f32 v149, v149, s64, -v53                            // 00000001CEDC: D1CB0095 84D48195
	v_fma_f32 v150, v150, s64, -v53                            // 00000001CEE4: D1CB0096 84D48196
	v_fma_f32 v151, v151, s64, -v53                            // 00000001CEEC: D1CB0097 84D48197
	v_fma_f32 v152, v152, s64, -v53                            // 00000001CEF4: D1CB0098 84D48198
	v_fma_f32 v153, v153, s64, -v53                            // 00000001CEFC: D1CB0099 84D48199
	v_fma_f32 v154, v154, s64, -v53                            // 00000001CF04: D1CB009A 84D4819A
	v_fma_f32 v155, v155, s64, -v53                            // 00000001CF0C: D1CB009B 84D4819B
	v_fma_f32 v156, v156, s64, -v53                            // 00000001CF14: D1CB009C 84D4819C
	v_fma_f32 v157, v157, s64, -v53                            // 00000001CF1C: D1CB009D 84D4819D
	v_fma_f32 v158, v158, s64, -v53                            // 00000001CF24: D1CB009E 84D4819E
	v_fma_f32 v159, v159, s64, -v53                            // 00000001CF2C: D1CB009F 84D4819F
	v_exp_f32_e32 v144, v144                                   // 00000001CF34: 7F204190
	v_exp_f32_e32 v145, v145                                   // 00000001CF38: 7F224191
	v_exp_f32_e32 v146, v146                                   // 00000001CF3C: 7F244192
	v_exp_f32_e32 v147, v147                                   // 00000001CF40: 7F264193
	v_exp_f32_e32 v148, v148                                   // 00000001CF44: 7F284194
	v_exp_f32_e32 v149, v149                                   // 00000001CF48: 7F2A4195
	v_exp_f32_e32 v150, v150                                   // 00000001CF4C: 7F2C4196
	v_exp_f32_e32 v151, v151                                   // 00000001CF50: 7F2E4197
	v_exp_f32_e32 v152, v152                                   // 00000001CF54: 7F304198
	v_exp_f32_e32 v153, v153                                   // 00000001CF58: 7F324199
	v_exp_f32_e32 v154, v154                                   // 00000001CF5C: 7F34419A
	v_exp_f32_e32 v155, v155                                   // 00000001CF60: 7F36419B
	v_exp_f32_e32 v156, v156                                   // 00000001CF64: 7F38419C
	v_exp_f32_e32 v157, v157                                   // 00000001CF68: 7F3A419D
	v_exp_f32_e32 v158, v158                                   // 00000001CF6C: 7F3C419E
	v_exp_f32_e32 v159, v159                                   // 00000001CF70: 7F3E419F
	v_mul_f32_dpp v240, v252, v144 quad_perm:[0,0,0,0] row_mask:0xf bank_mask:0xf// 00000001CF74: 0BE120FA FF0000FC
	v_mul_f32_dpp v241, v252, v145 quad_perm:[1,1,1,1] row_mask:0xf bank_mask:0xf// 00000001CF7C: 0BE322FA FF0055FC
	v_mul_f32_dpp v242, v252, v146 quad_perm:[2,2,2,2] row_mask:0xf bank_mask:0xf// 00000001CF84: 0BE524FA FF00AAFC
	v_mul_f32_dpp v243, v252, v147 quad_perm:[3,3,3,3] row_mask:0xf bank_mask:0xf// 00000001CF8C: 0BE726FA FF00FFFC
	v_mul_f32_dpp v244, v253, v148 quad_perm:[0,0,0,0] row_mask:0xf bank_mask:0xf// 00000001CF94: 0BE928FA FF0000FD
	v_mul_f32_dpp v245, v253, v149 quad_perm:[1,1,1,1] row_mask:0xf bank_mask:0xf// 00000001CF9C: 0BEB2AFA FF0055FD
	v_mul_f32_dpp v246, v253, v150 quad_perm:[2,2,2,2] row_mask:0xf bank_mask:0xf// 00000001CFA4: 0BED2CFA FF00AAFD
	v_mul_f32_dpp v247, v253, v151 quad_perm:[3,3,3,3] row_mask:0xf bank_mask:0xf// 00000001CFAC: 0BEF2EFA FF00FFFD
	v_mul_f32_dpp v248, v254, v152 quad_perm:[0,0,0,0] row_mask:0xf bank_mask:0xf// 00000001CFB4: 0BF130FA FF0000FE
	v_mul_f32_dpp v249, v254, v153 quad_perm:[1,1,1,1] row_mask:0xf bank_mask:0xf// 00000001CFBC: 0BF332FA FF0055FE
	v_mul_f32_dpp v250, v254, v154 quad_perm:[2,2,2,2] row_mask:0xf bank_mask:0xf// 00000001CFC4: 0BF534FA FF00AAFE
	v_mul_f32_dpp v251, v254, v155 quad_perm:[3,3,3,3] row_mask:0xf bank_mask:0xf// 00000001CFCC: 0BF736FA FF00FFFE
	v_mul_f32_dpp v252, v255, v156 quad_perm:[0,0,0,0] row_mask:0xf bank_mask:0xf// 00000001CFD4: 0BF938FA FF0000FF
	v_mul_f32_dpp v253, v255, v157 quad_perm:[1,1,1,1] row_mask:0xf bank_mask:0xf// 00000001CFDC: 0BFB3AFA FF0055FF
	v_mul_f32_dpp v254, v255, v158 quad_perm:[2,2,2,2] row_mask:0xf bank_mask:0xf// 00000001CFE4: 0BFD3CFA FF00AAFF
	v_mul_f32_dpp v255, v255, v159 quad_perm:[3,3,3,3] row_mask:0xf bank_mask:0xf// 00000001CFEC: 0BFF3EFA FF00FFFF
	v_mov_b32_e32 v48, 0x358637bd                              // 00000001CFF4: 7E6002FF 358637BD
	v_max3_f32 v48, |v240|, |v241|, v48                        // 00000001CFFC: D1D30330 04C3E3F0
	v_max3_f32 v48, |v242|, |v243|, v48                        // 00000001D004: D1D30330 04C3E7F2
	v_max3_f32 v48, |v244|, |v245|, v48                        // 00000001D00C: D1D30330 04C3EBF4
	v_max3_f32 v48, |v246|, |v247|, v48                        // 00000001D014: D1D30330 04C3EFF6
	v_max3_f32 v48, |v248|, |v249|, v48                        // 00000001D01C: D1D30330 04C3F3F8
	v_max3_f32 v48, |v250|, |v251|, v48                        // 00000001D024: D1D30330 04C3F7FA
	v_max3_f32 v48, |v252|, |v253|, v48                        // 00000001D02C: D1D30330 04C3FBFC
	v_max3_f32 v48, |v254|, |v255|, v48                        // 00000001D034: D1D30330 04C3FFFE
	ds_write_b32 v8, v48 offset:20992                          // 00000001D03C: D81A5200 00003008
	v_sub_f32_e32 v51, v13, v15                                // 00000001D044: 04661F0D
	v_cndmask_b32_e64 v51, v51, 0, s[40:41]                    // 00000001D048: D1000033 00A10133
	v_mov_b32_e32 v13, v15                                     // 00000001D050: 7E1A030F
	v_mul_f32_e32 v51, s64, v51                                // 00000001D054: 0A666640
	v_exp_f32_e32 v51, v51                                     // 00000001D058: 7E664133
	s_waitcnt lgkmcnt(0)                                       // 00000001D05C: BF8CC07F
	s_barrier                                                  // 00000001D060: BF8A0000
	ds_read_b32 v64, v7 offset:20992                           // 00000001D064: D86C5200 40000007
	ds_read_b32 v65, v7 offset:21056                           // 00000001D06C: D86C5240 41000007
	ds_read_b32 v66, v7 offset:21120                           // 00000001D074: D86C5280 42000007
	ds_read_b32 v67, v7 offset:21184                           // 00000001D07C: D86C52C0 43000007
	ds_read_b32 v68, v7 offset:21248                           // 00000001D084: D86C5300 44000007
	ds_read_b32 v69, v7 offset:21312                           // 00000001D08C: D86C5340 45000007
	ds_read_b32 v70, v7 offset:21376                           // 00000001D094: D86C5380 46000007
	ds_read_b32 v71, v7 offset:21440                           // 00000001D09C: D86C53C0 47000007
	ds_read_b32 v72, v7 offset:21504                           // 00000001D0A4: D86C5400 48000007
	ds_read_b32 v73, v7 offset:21568                           // 00000001D0AC: D86C5440 49000007
	ds_read_b32 v74, v7 offset:21632                           // 00000001D0B4: D86C5480 4A000007
	ds_read_b32 v75, v7 offset:21696                           // 00000001D0BC: D86C54C0 4B000007
	ds_read_b32 v76, v7 offset:21760                           // 00000001D0C4: D86C5500 4C000007
	ds_read_b32 v77, v7 offset:21824                           // 00000001D0CC: D86C5540 4D000007
	ds_read_b32 v78, v7 offset:21888                           // 00000001D0D4: D86C5580 4E000007
	ds_read_b32 v79, v7 offset:21952                           // 00000001D0DC: D86C55C0 4F000007
	v_mul_f32_e32 v40, v51, v40                                // 00000001D0E4: 0A505133
	v_mov_b32_e32 v15, v144                                    // 00000001D0E8: 7E1E0390
	v_add_f32_e32 v15, v145, v15                               // 00000001D0EC: 021E1F91
	v_add_f32_e32 v15, v146, v15                               // 00000001D0F0: 021E1F92
	v_add_f32_e32 v15, v147, v15                               // 00000001D0F4: 021E1F93
	v_add_f32_e32 v15, v148, v15                               // 00000001D0F8: 021E1F94
	v_add_f32_e32 v15, v149, v15                               // 00000001D0FC: 021E1F95
	v_add_f32_e32 v15, v150, v15                               // 00000001D100: 021E1F96
	v_add_f32_e32 v15, v151, v15                               // 00000001D104: 021E1F97
	v_add_f32_e32 v15, v152, v15                               // 00000001D108: 021E1F98
	v_add_f32_e32 v15, v153, v15                               // 00000001D10C: 021E1F99
	v_add_f32_e32 v15, v154, v15                               // 00000001D110: 021E1F9A
	v_add_f32_e32 v15, v155, v15                               // 00000001D114: 021E1F9B
	v_add_f32_e32 v15, v156, v15                               // 00000001D118: 021E1F9C
	v_add_f32_e32 v15, v157, v15                               // 00000001D11C: 021E1F9D
	v_add_f32_e32 v15, v158, v15                               // 00000001D120: 021E1F9E
	v_add_f32_e32 v15, v159, v15                               // 00000001D124: 021E1F9F
	v_add_f32_e32 v40, v15, v40                                // 00000001D128: 0250510F
	s_waitcnt lgkmcnt(0)                                       // 00000001D12C: BF8CC07F
	v_max3_f32 v48, |v64|, |v65|, v48                          // 00000001D130: D1D30330 04C28340
	v_max3_f32 v48, |v66|, |v67|, v48                          // 00000001D138: D1D30330 04C28742
	v_max3_f32 v48, |v68|, |v69|, v48                          // 00000001D140: D1D30330 04C28B44
	v_max3_f32 v48, |v70|, |v71|, v48                          // 00000001D148: D1D30330 04C28F46
	v_max3_f32 v48, |v72|, |v73|, v48                          // 00000001D150: D1D30330 04C29348
	v_max3_f32 v48, |v74|, |v75|, v48                          // 00000001D158: D1D30330 04C2974A
	v_max3_f32 v48, |v76|, |v77|, v48                          // 00000001D160: D1D30330 04C29B4C
	v_max3_f32 v48, |v78|, |v79|, v48                          // 00000001D168: D1D30330 04C29F4E
	s_nop 2                                                    // 00000001D170: BF800002
	v_rcp_f32_e32 v48, v48                                     // 00000001D174: 7E604530
	s_nop 1                                                    // 00000001D178: BF800001
	v_mul_f32_e32 v48, 0x42fe0000, v48                         // 00000001D17C: 0A6060FF 42FE0000
	v_mul_f32_e32 v144, v48, v240                              // 00000001D184: 0B21E130
	v_mul_f32_e32 v145, v48, v241                              // 00000001D188: 0B23E330
	v_mul_f32_e32 v146, v48, v242                              // 00000001D18C: 0B25E530
	v_mul_f32_e32 v147, v48, v243                              // 00000001D190: 0B27E730
	v_mul_f32_e32 v148, v48, v244                              // 00000001D194: 0B29E930
	v_mul_f32_e32 v149, v48, v245                              // 00000001D198: 0B2BEB30
	v_mul_f32_e32 v150, v48, v246                              // 00000001D19C: 0B2DED30
	v_mul_f32_e32 v151, v48, v247                              // 00000001D1A0: 0B2FEF30
	v_mul_f32_e32 v152, v48, v248                              // 00000001D1A4: 0B31F130
	v_mul_f32_e32 v153, v48, v249                              // 00000001D1A8: 0B33F330
	v_mul_f32_e32 v154, v48, v250                              // 00000001D1AC: 0B35F530
	v_mul_f32_e32 v155, v48, v251                              // 00000001D1B0: 0B37F730
	v_mul_f32_e32 v156, v48, v252                              // 00000001D1B4: 0B39F930
	v_mul_f32_e32 v157, v48, v253                              // 00000001D1B8: 0B3BFB30
	v_mul_f32_e32 v158, v48, v254                              // 00000001D1BC: 0B3DFD30
	v_mul_f32_e32 v159, v48, v255                              // 00000001D1C0: 0B3FFF30
	v_cvt_i32_f32_e32 v144, v144                               // 00000001D1C4: 7F201190
	v_cvt_i32_f32_e32 v145, v145                               // 00000001D1C8: 7F221191
	v_cvt_i32_f32_e32 v146, v146                               // 00000001D1CC: 7F241192
	v_cvt_i32_f32_e32 v147, v147                               // 00000001D1D0: 7F261193
	v_cvt_i32_f32_e32 v148, v148                               // 00000001D1D4: 7F281194
	v_cvt_i32_f32_e32 v149, v149                               // 00000001D1D8: 7F2A1195
	v_cvt_i32_f32_e32 v150, v150                               // 00000001D1DC: 7F2C1196
	v_cvt_i32_f32_e32 v151, v151                               // 00000001D1E0: 7F2E1197
	v_cvt_i32_f32_e32 v152, v152                               // 00000001D1E4: 7F301198
	v_cvt_i32_f32_e32 v153, v153                               // 00000001D1E8: 7F321199
	v_cvt_i32_f32_e32 v154, v154                               // 00000001D1EC: 7F34119A
	v_cvt_i32_f32_e32 v155, v155                               // 00000001D1F0: 7F36119B
	v_cvt_i32_f32_e32 v156, v156                               // 00000001D1F4: 7F38119C
	v_cvt_i32_f32_e32 v157, v157                               // 00000001D1F8: 7F3A119D
	v_cvt_i32_f32_e32 v158, v158                               // 00000001D1FC: 7F3C119E
	v_cvt_i32_f32_e32 v159, v159                               // 00000001D200: 7F3E119F
	v_perm_b32 v144, v145, v144, s53                           // 00000001D204: D1ED0090 00D72191
	v_perm_b32 v144, v146, v144, s54                           // 00000001D20C: D1ED0090 00DB2192
	v_perm_b32 v144, v147, v144, s55                           // 00000001D214: D1ED0090 00DF2193
	v_perm_b32 v145, v149, v148, s53                           // 00000001D21C: D1ED0091 00D72995
	v_perm_b32 v145, v150, v145, s54                           // 00000001D224: D1ED0091 00DB2396
	v_perm_b32 v145, v151, v145, s55                           // 00000001D22C: D1ED0091 00DF2397
	v_perm_b32 v146, v153, v152, s53                           // 00000001D234: D1ED0092 00D73199
	v_perm_b32 v146, v154, v146, s54                           // 00000001D23C: D1ED0092 00DB259A
	v_perm_b32 v146, v155, v146, s55                           // 00000001D244: D1ED0092 00DF259B
	v_perm_b32 v147, v157, v156, s53                           // 00000001D24C: D1ED0093 00D7399D
	v_perm_b32 v147, v158, v147, s54                           // 00000001D254: D1ED0093 00DB279E
	v_perm_b32 v147, v159, v147, s55                           // 00000001D25C: D1ED0093 00DF279F
	ds_write_b32 v10, v144 offset:33280                        // 00000001D264: D81A8200 0000900A
	ds_write_b32 v10, v145 offset:34304                        // 00000001D26C: D81A8600 0000910A
	ds_write_b32 v10, v146 offset:35328                        // 00000001D274: D81A8A00 0000920A
	ds_write_b32 v10, v147 offset:36352                        // 00000001D27C: D81A8E00 0000930A
	v_add_f32_e32 v224, v224, v192                             // 00000001D284: 03C181E0
	v_add_f32_e32 v225, v225, v193                             // 00000001D288: 03C383E1
	v_add_f32_e32 v226, v226, v194                             // 00000001D28C: 03C585E2
	v_add_f32_e32 v227, v227, v195                             // 00000001D290: 03C787E3
	v_add_f32_e32 v228, v228, v196                             // 00000001D294: 03C989E4
	v_add_f32_e32 v229, v229, v197                             // 00000001D298: 03CB8BE5
	v_add_f32_e32 v230, v230, v198                             // 00000001D29C: 03CD8DE6
	v_add_f32_e32 v231, v231, v199                             // 00000001D2A0: 03CF8FE7
	v_rcp_f32_e32 v46, v48                                     // 00000001D2A4: 7E5C4530
	s_waitcnt lgkmcnt(0)                                       // 00000001D2A8: BF8CC07F
	s_barrier                                                  // 00000001D2AC: BF8A0000
	ds_read_b64 v[144:145], v9 offset:33280                    // 00000001D2B0: D8EC8200 90000009
	ds_read_b64 v[146:147], v9 offset:33408                    // 00000001D2B8: D8EC8280 92000009
	ds_read_b64 v[148:149], v9 offset:34304                    // 00000001D2C0: D8EC8600 94000009
	ds_read_b64 v[150:151], v9 offset:34432                    // 00000001D2C8: D8EC8680 96000009
	ds_read_b64 v[152:153], v9 offset:35328                    // 00000001D2D0: D8EC8A00 98000009
	ds_read_b64 v[154:155], v9 offset:35456                    // 00000001D2D8: D8EC8A80 9A000009
	ds_read_b64 v[156:157], v9 offset:36352                    // 00000001D2E0: D8EC8E00 9C000009
	ds_read_b64 v[158:159], v9 offset:36480                    // 00000001D2E8: D8EC8E80 9E000009
	v_mov_b32_dpp v64, v42 row_shr:4 row_mask:0xf bank_mask:0xf// 00000001D2F0: 7E8002FA FF01142A
	v_mov_b32_dpp v65, v42 row_shl:4 row_mask:0xf bank_mask:0xf// 00000001D2F8: 7E8202FA FF01042A
	v_cndmask_b32_e64 v248, v42, v64, s[44:45]                 // 00000001D300: D10000F8 00B2812A
	v_cndmask_b32_e64 v249, v65, v42, s[44:45]                 // 00000001D308: D10000F9 00B25541
	v_mov_b32_dpp v64, v248 row_shr:8 row_mask:0xf bank_mask:0xf// 00000001D310: 7E8002FA FF0118F8
	v_mov_b32_dpp v65, v248 row_shl:8 row_mask:0xf bank_mask:0xf// 00000001D318: 7E8202FA FF0108F8
	v_mov_b32_dpp v66, v249 row_shr:8 row_mask:0xf bank_mask:0xf// 00000001D320: 7E8402FA FF0118F9
	v_mov_b32_dpp v67, v249 row_shl:8 row_mask:0xf bank_mask:0xf// 00000001D328: 7E8602FA FF0108F9
	v_mov_b32_e32 v68, v248                                    // 00000001D330: 7E8803F8
	v_mov_b32_e32 v69, v249                                    // 00000001D334: 7E8A03F9
	v_cndmask_b32_e64 v248, v68, v64, s[42:43]                 // 00000001D338: D10000F8 00AA8144
	v_cndmask_b32_e64 v250, v68, v65, s[78:79]                 // 00000001D340: D10000FA 013A8344
	v_cndmask_b32_e64 v249, v69, v66, s[42:43]                 // 00000001D348: D10000F9 00AA8545
	v_cndmask_b32_e64 v251, v69, v67, s[78:79]                 // 00000001D350: D10000FB 013A8745
	v_mov_b32_dpp v64, v57 row_shr:4 row_mask:0xf bank_mask:0xf// 00000001D358: 7E8002FA FF011439
	v_mov_b32_dpp v65, v57 row_shl:4 row_mask:0xf bank_mask:0xf// 00000001D360: 7E8202FA FF010439
	v_cndmask_b32_e64 v252, v57, v64, s[44:45]                 // 00000001D368: D10000FC 00B28139
	v_cndmask_b32_e64 v253, v65, v57, s[44:45]                 // 00000001D370: D10000FD 00B27341
	v_mov_b32_dpp v64, v252 row_shr:8 row_mask:0xf bank_mask:0xf// 00000001D378: 7E8002FA FF0118FC
	v_mov_b32_dpp v65, v252 row_shl:8 row_mask:0xf bank_mask:0xf// 00000001D380: 7E8202FA FF0108FC
	v_mov_b32_dpp v66, v253 row_shr:8 row_mask:0xf bank_mask:0xf// 00000001D388: 7E8402FA FF0118FD
	v_mov_b32_dpp v67, v253 row_shl:8 row_mask:0xf bank_mask:0xf// 00000001D390: 7E8602FA FF0108FD
	v_mov_b32_e32 v68, v252                                    // 00000001D398: 7E8803FC
	v_mov_b32_e32 v69, v253                                    // 00000001D39C: 7E8A03FD
	v_cndmask_b32_e64 v252, v68, v64, s[42:43]                 // 00000001D3A0: D10000FC 00AA8144
	v_cndmask_b32_e64 v254, v68, v65, s[78:79]                 // 00000001D3A8: D10000FE 013A8344
	v_cndmask_b32_e64 v253, v69, v66, s[42:43]                 // 00000001D3B0: D10000FD 00AA8545
	v_cndmask_b32_e64 v255, v69, v67, s[78:79]                 // 00000001D3B8: D10000FF 013A8745
	v_cvt_f32_i32_e32 v160, v160                               // 00000001D3C0: 7F400BA0
	v_cvt_f32_i32_e32 v161, v161                               // 00000001D3C4: 7F420BA1
	v_cvt_f32_i32_e32 v162, v162                               // 00000001D3C8: 7F440BA2
	v_cvt_f32_i32_e32 v163, v163                               // 00000001D3CC: 7F460BA3
	v_cvt_f32_i32_e32 v164, v164                               // 00000001D3D0: 7F480BA4
	v_cvt_f32_i32_e32 v165, v165                               // 00000001D3D4: 7F4A0BA5
	v_cvt_f32_i32_e32 v166, v166                               // 00000001D3D8: 7F4C0BA6
	v_cvt_f32_i32_e32 v167, v167                               // 00000001D3DC: 7F4E0BA7
	v_cvt_f32_i32_e32 v168, v168                               // 00000001D3E0: 7F500BA8
	v_cvt_f32_i32_e32 v169, v169                               // 00000001D3E4: 7F520BA9
	v_cvt_f32_i32_e32 v170, v170                               // 00000001D3E8: 7F540BAA
	v_cvt_f32_i32_e32 v171, v171                               // 00000001D3EC: 7F560BAB
	v_cvt_f32_i32_e32 v172, v172                               // 00000001D3F0: 7F580BAC
	v_cvt_f32_i32_e32 v173, v173                               // 00000001D3F4: 7F5A0BAD
	v_cvt_f32_i32_e32 v174, v174                               // 00000001D3F8: 7F5C0BAE
	v_cvt_f32_i32_e32 v175, v175                               // 00000001D3FC: 7F5E0BAF
	v_mul_f32_e32 v160, v21, v160                              // 00000001D400: 0B414115
	v_mul_f32_e32 v161, v21, v161                              // 00000001D404: 0B434315
	v_mul_f32_e32 v162, v21, v162                              // 00000001D408: 0B454515
	v_mul_f32_e32 v163, v21, v163                              // 00000001D40C: 0B474715
	v_mul_f32_e32 v164, v21, v164                              // 00000001D410: 0B494915
	v_mul_f32_e32 v165, v21, v165                              // 00000001D414: 0B4B4B15
	v_mul_f32_e32 v166, v21, v166                              // 00000001D418: 0B4D4D15
	v_mul_f32_e32 v167, v21, v167                              // 00000001D41C: 0B4F4F15
	v_mul_f32_e32 v168, v21, v168                              // 00000001D420: 0B515115
	v_mul_f32_e32 v169, v21, v169                              // 00000001D424: 0B535315
	v_mul_f32_e32 v170, v21, v170                              // 00000001D428: 0B555515
	v_mul_f32_e32 v171, v21, v171                              // 00000001D42C: 0B575715
	v_mul_f32_e32 v172, v21, v172                              // 00000001D430: 0B595915
	v_mul_f32_e32 v173, v21, v173                              // 00000001D434: 0B5B5B15
	v_mul_f32_e32 v174, v21, v174                              // 00000001D438: 0B5D5D15
	v_mul_f32_e32 v175, v21, v175                              // 00000001D43C: 0B5F5F15
	v_mul_f32_dpp v160, v248, v160 quad_perm:[0,0,0,0] row_mask:0xf bank_mask:0xf// 00000001D440: 0B4140FA FF0000F8
	v_mul_f32_dpp v161, v248, v161 quad_perm:[1,1,1,1] row_mask:0xf bank_mask:0xf// 00000001D448: 0B4342FA FF0055F8
	v_mul_f32_dpp v162, v248, v162 quad_perm:[2,2,2,2] row_mask:0xf bank_mask:0xf// 00000001D450: 0B4544FA FF00AAF8
	v_mul_f32_dpp v163, v248, v163 quad_perm:[3,3,3,3] row_mask:0xf bank_mask:0xf// 00000001D458: 0B4746FA FF00FFF8
	v_mul_f32_dpp v164, v249, v164 quad_perm:[0,0,0,0] row_mask:0xf bank_mask:0xf// 00000001D460: 0B4948FA FF0000F9
	v_mul_f32_dpp v165, v249, v165 quad_perm:[1,1,1,1] row_mask:0xf bank_mask:0xf// 00000001D468: 0B4B4AFA FF0055F9
	v_mul_f32_dpp v166, v249, v166 quad_perm:[2,2,2,2] row_mask:0xf bank_mask:0xf// 00000001D470: 0B4D4CFA FF00AAF9
	v_mul_f32_dpp v167, v249, v167 quad_perm:[3,3,3,3] row_mask:0xf bank_mask:0xf// 00000001D478: 0B4F4EFA FF00FFF9
	v_mul_f32_dpp v168, v250, v168 quad_perm:[0,0,0,0] row_mask:0xf bank_mask:0xf// 00000001D480: 0B5150FA FF0000FA
	v_mul_f32_dpp v169, v250, v169 quad_perm:[1,1,1,1] row_mask:0xf bank_mask:0xf// 00000001D488: 0B5352FA FF0055FA
	v_mul_f32_dpp v170, v250, v170 quad_perm:[2,2,2,2] row_mask:0xf bank_mask:0xf// 00000001D490: 0B5554FA FF00AAFA
	v_mul_f32_dpp v171, v250, v171 quad_perm:[3,3,3,3] row_mask:0xf bank_mask:0xf// 00000001D498: 0B5756FA FF00FFFA
	v_mul_f32_dpp v172, v251, v172 quad_perm:[0,0,0,0] row_mask:0xf bank_mask:0xf// 00000001D4A0: 0B5958FA FF0000FB
	v_mul_f32_dpp v173, v251, v173 quad_perm:[1,1,1,1] row_mask:0xf bank_mask:0xf// 00000001D4A8: 0B5B5AFA FF0055FB
	v_mul_f32_dpp v174, v251, v174 quad_perm:[2,2,2,2] row_mask:0xf bank_mask:0xf// 00000001D4B0: 0B5D5CFA FF00AAFB
	v_mul_f32_dpp v175, v251, v175 quad_perm:[3,3,3,3] row_mask:0xf bank_mask:0xf// 00000001D4B8: 0B5F5EFA FF00FFFB
	v_mov_b32_e32 v48, v160                                    // 00000001D4C0: 7E6003A0
	v_max3_f32 v48, v160, v161, v48                            // 00000001D4C4: D1D30030 04C343A0
	v_max3_f32 v48, v162, v163, v48                            // 00000001D4CC: D1D30030 04C347A2
	v_max3_f32 v48, v164, v165, v48                            // 00000001D4D4: D1D30030 04C34BA4
	v_max3_f32 v48, v166, v167, v48                            // 00000001D4DC: D1D30030 04C34FA6
	v_max3_f32 v48, v168, v169, v48                            // 00000001D4E4: D1D30030 04C353A8
	v_max3_f32 v48, v170, v171, v48                            // 00000001D4EC: D1D30030 04C357AA
	v_max3_f32 v48, v172, v173, v48                            // 00000001D4F4: D1D30030 04C35BAC
	v_max3_f32 v48, v174, v175, v48                            // 00000001D4FC: D1D30030 04C35FAE
	ds_write_b32 v8, v48 offset:16896                          // 00000001D504: D81A4200 00003008
	v_mul_f32_e32 v232, v52, v232                              // 00000001D50C: 0BD1D134
	v_mul_f32_e32 v233, v52, v233                              // 00000001D510: 0BD3D334
	v_mul_f32_e32 v234, v52, v234                              // 00000001D514: 0BD5D534
	v_mul_f32_e32 v235, v52, v235                              // 00000001D518: 0BD7D734
	v_mul_f32_e32 v236, v52, v236                              // 00000001D51C: 0BD9D934
	v_mul_f32_e32 v237, v52, v237                              // 00000001D520: 0BDBDB34
	v_mul_f32_e32 v238, v52, v238                              // 00000001D524: 0BDDDD34
	v_mul_f32_e32 v239, v52, v239                              // 00000001D528: 0BDFDF34
	s_waitcnt lgkmcnt(0)                                       // 00000001D52C: BF8CC07F
	s_barrier                                                  // 00000001D530: BF8A0000
	ds_read_b32 v64, v7 offset:16896                           // 00000001D534: D86C4200 40000007
	ds_read_b32 v65, v7 offset:16960                           // 00000001D53C: D86C4240 41000007
	ds_read_b32 v66, v7 offset:17024                           // 00000001D544: D86C4280 42000007
	ds_read_b32 v67, v7 offset:17088                           // 00000001D54C: D86C42C0 43000007
	ds_read_b32 v68, v7 offset:17152                           // 00000001D554: D86C4300 44000007
	ds_read_b32 v69, v7 offset:17216                           // 00000001D55C: D86C4340 45000007
	ds_read_b32 v70, v7 offset:17280                           // 00000001D564: D86C4380 46000007
	ds_read_b32 v71, v7 offset:17344                           // 00000001D56C: D86C43C0 47000007
	ds_read_b32 v72, v7 offset:17408                           // 00000001D574: D86C4400 48000007
	ds_read_b32 v73, v7 offset:17472                           // 00000001D57C: D86C4440 49000007
	ds_read_b32 v74, v7 offset:17536                           // 00000001D584: D86C4480 4A000007
	ds_read_b32 v75, v7 offset:17600                           // 00000001D58C: D86C44C0 4B000007
	ds_read_b32 v76, v7 offset:17664                           // 00000001D594: D86C4500 4C000007
	ds_read_b32 v77, v7 offset:17728                           // 00000001D59C: D86C4540 4D000007
	ds_read_b32 v78, v7 offset:17792                           // 00000001D5A4: D86C4580 4E000007
	ds_read_b32 v79, v7 offset:17856                           // 00000001D5AC: D86C45C0 4F000007
	v_cvt_f32_i32_e32 v200, v200                               // 00000001D5B4: 7F900BC8
	v_cvt_f32_i32_e32 v201, v201                               // 00000001D5B8: 7F920BC9
	v_cvt_f32_i32_e32 v202, v202                               // 00000001D5BC: 7F940BCA
	v_cvt_f32_i32_e32 v203, v203                               // 00000001D5C0: 7F960BCB
	v_cvt_f32_i32_e32 v204, v204                               // 00000001D5C4: 7F980BCC
	v_cvt_f32_i32_e32 v205, v205                               // 00000001D5C8: 7F9A0BCD
	v_cvt_f32_i32_e32 v206, v206                               // 00000001D5CC: 7F9C0BCE
	v_cvt_f32_i32_e32 v207, v207                               // 00000001D5D0: 7F9E0BCF
	v_mul_f32_e32 v200, v47, v200                              // 00000001D5D4: 0B91912F
	v_mul_f32_e32 v201, v47, v201                              // 00000001D5D8: 0B93932F
	v_mul_f32_e32 v202, v47, v202                              // 00000001D5DC: 0B95952F
	v_mul_f32_e32 v203, v47, v203                              // 00000001D5E0: 0B97972F
	v_mul_f32_e32 v204, v47, v204                              // 00000001D5E4: 0B99992F
	v_mul_f32_e32 v205, v47, v205                              // 00000001D5E8: 0B9B9B2F
	v_mul_f32_e32 v206, v47, v206                              // 00000001D5EC: 0B9D9D2F
	v_mul_f32_e32 v207, v47, v207                              // 00000001D5F0: 0B9F9F2F
	s_waitcnt lgkmcnt(0)                                       // 00000001D5F4: BF8CC07F
	v_max3_f32 v48, v64, v65, v48                              // 00000001D5F8: D1D30030 04C28340
	v_max3_f32 v48, v66, v67, v48                              // 00000001D600: D1D30030 04C28742
	v_max3_f32 v48, v68, v69, v48                              // 00000001D608: D1D30030 04C28B44
	v_max3_f32 v48, v70, v71, v48                              // 00000001D610: D1D30030 04C28F46
	v_max3_f32 v48, v72, v73, v48                              // 00000001D618: D1D30030 04C29348
	v_max3_f32 v48, v74, v75, v48                              // 00000001D620: D1D30030 04C2974A
	v_max3_f32 v48, v76, v77, v48                              // 00000001D628: D1D30030 04C29B4C
	v_max3_f32 v48, v78, v79, v48                              // 00000001D630: D1D30030 04C29F4E
	v_mov_b32_e32 v64, 0xff800000                              // 00000001D638: 7E8002FF FF800000
	v_cmp_eq_u32_e64 s[40:41], v64, v14                        // 00000001D640: D0CA0028 00021D40
	s_nop 1                                                    // 00000001D648: BF800001
	v_max_f32_e32 v15, v48, v14                                // 00000001D64C: 161E1D30
	v_mul_f32_e32 v53, s64, v15                                // 00000001D650: 0A6A1E40
	v_fma_f32 v160, v160, s64, -v53                            // 00000001D654: D1CB00A0 84D481A0
	v_fma_f32 v161, v161, s64, -v53                            // 00000001D65C: D1CB00A1 84D481A1
	v_fma_f32 v162, v162, s64, -v53                            // 00000001D664: D1CB00A2 84D481A2
	v_fma_f32 v163, v163, s64, -v53                            // 00000001D66C: D1CB00A3 84D481A3
	v_fma_f32 v164, v164, s64, -v53                            // 00000001D674: D1CB00A4 84D481A4
	v_fma_f32 v165, v165, s64, -v53                            // 00000001D67C: D1CB00A5 84D481A5
	v_fma_f32 v166, v166, s64, -v53                            // 00000001D684: D1CB00A6 84D481A6
	v_fma_f32 v167, v167, s64, -v53                            // 00000001D68C: D1CB00A7 84D481A7
	v_fma_f32 v168, v168, s64, -v53                            // 00000001D694: D1CB00A8 84D481A8
	v_fma_f32 v169, v169, s64, -v53                            // 00000001D69C: D1CB00A9 84D481A9
	v_fma_f32 v170, v170, s64, -v53                            // 00000001D6A4: D1CB00AA 84D481AA
	v_fma_f32 v171, v171, s64, -v53                            // 00000001D6AC: D1CB00AB 84D481AB
	v_fma_f32 v172, v172, s64, -v53                            // 00000001D6B4: D1CB00AC 84D481AC
	v_fma_f32 v173, v173, s64, -v53                            // 00000001D6BC: D1CB00AD 84D481AD
	v_fma_f32 v174, v174, s64, -v53                            // 00000001D6C4: D1CB00AE 84D481AE
	v_fma_f32 v175, v175, s64, -v53                            // 00000001D6CC: D1CB00AF 84D481AF
	v_exp_f32_e32 v160, v160                                   // 00000001D6D4: 7F4041A0
	v_exp_f32_e32 v161, v161                                   // 00000001D6D8: 7F4241A1
	v_exp_f32_e32 v162, v162                                   // 00000001D6DC: 7F4441A2
	v_exp_f32_e32 v163, v163                                   // 00000001D6E0: 7F4641A3
	v_exp_f32_e32 v164, v164                                   // 00000001D6E4: 7F4841A4
	v_exp_f32_e32 v165, v165                                   // 00000001D6E8: 7F4A41A5
	v_exp_f32_e32 v166, v166                                   // 00000001D6EC: 7F4C41A6
	v_exp_f32_e32 v167, v167                                   // 00000001D6F0: 7F4E41A7
	v_exp_f32_e32 v168, v168                                   // 00000001D6F4: 7F5041A8
	v_exp_f32_e32 v169, v169                                   // 00000001D6F8: 7F5241A9
	v_exp_f32_e32 v170, v170                                   // 00000001D6FC: 7F5441AA
	v_exp_f32_e32 v171, v171                                   // 00000001D700: 7F5641AB
	v_exp_f32_e32 v172, v172                                   // 00000001D704: 7F5841AC
	v_exp_f32_e32 v173, v173                                   // 00000001D708: 7F5A41AD
	v_exp_f32_e32 v174, v174                                   // 00000001D70C: 7F5C41AE
	v_exp_f32_e32 v175, v175                                   // 00000001D710: 7F5E41AF
	v_mul_f32_dpp v240, v252, v160 quad_perm:[0,0,0,0] row_mask:0xf bank_mask:0xf// 00000001D714: 0BE140FA FF0000FC
	v_mul_f32_dpp v241, v252, v161 quad_perm:[1,1,1,1] row_mask:0xf bank_mask:0xf// 00000001D71C: 0BE342FA FF0055FC
	v_mul_f32_dpp v242, v252, v162 quad_perm:[2,2,2,2] row_mask:0xf bank_mask:0xf// 00000001D724: 0BE544FA FF00AAFC
	v_mul_f32_dpp v243, v252, v163 quad_perm:[3,3,3,3] row_mask:0xf bank_mask:0xf// 00000001D72C: 0BE746FA FF00FFFC
	v_mul_f32_dpp v244, v253, v164 quad_perm:[0,0,0,0] row_mask:0xf bank_mask:0xf// 00000001D734: 0BE948FA FF0000FD
	v_mul_f32_dpp v245, v253, v165 quad_perm:[1,1,1,1] row_mask:0xf bank_mask:0xf// 00000001D73C: 0BEB4AFA FF0055FD
	v_mul_f32_dpp v246, v253, v166 quad_perm:[2,2,2,2] row_mask:0xf bank_mask:0xf// 00000001D744: 0BED4CFA FF00AAFD
	v_mul_f32_dpp v247, v253, v167 quad_perm:[3,3,3,3] row_mask:0xf bank_mask:0xf// 00000001D74C: 0BEF4EFA FF00FFFD
	v_mul_f32_dpp v248, v254, v168 quad_perm:[0,0,0,0] row_mask:0xf bank_mask:0xf// 00000001D754: 0BF150FA FF0000FE
	v_mul_f32_dpp v249, v254, v169 quad_perm:[1,1,1,1] row_mask:0xf bank_mask:0xf// 00000001D75C: 0BF352FA FF0055FE
	v_mul_f32_dpp v250, v254, v170 quad_perm:[2,2,2,2] row_mask:0xf bank_mask:0xf// 00000001D764: 0BF554FA FF00AAFE
	v_mul_f32_dpp v251, v254, v171 quad_perm:[3,3,3,3] row_mask:0xf bank_mask:0xf// 00000001D76C: 0BF756FA FF00FFFE
	v_mul_f32_dpp v252, v255, v172 quad_perm:[0,0,0,0] row_mask:0xf bank_mask:0xf// 00000001D774: 0BF958FA FF0000FF
	v_mul_f32_dpp v253, v255, v173 quad_perm:[1,1,1,1] row_mask:0xf bank_mask:0xf// 00000001D77C: 0BFB5AFA FF0055FF
	v_mul_f32_dpp v254, v255, v174 quad_perm:[2,2,2,2] row_mask:0xf bank_mask:0xf// 00000001D784: 0BFD5CFA FF00AAFF
	v_mul_f32_dpp v255, v255, v175 quad_perm:[3,3,3,3] row_mask:0xf bank_mask:0xf// 00000001D78C: 0BFF5EFA FF00FFFF
	v_mov_b32_e32 v48, 0x358637bd                              // 00000001D794: 7E6002FF 358637BD
	v_max3_f32 v48, |v240|, |v241|, v48                        // 00000001D79C: D1D30330 04C3E3F0
	v_max3_f32 v48, |v242|, |v243|, v48                        // 00000001D7A4: D1D30330 04C3E7F2
	v_max3_f32 v48, |v244|, |v245|, v48                        // 00000001D7AC: D1D30330 04C3EBF4
	v_max3_f32 v48, |v246|, |v247|, v48                        // 00000001D7B4: D1D30330 04C3EFF6
	v_max3_f32 v48, |v248|, |v249|, v48                        // 00000001D7BC: D1D30330 04C3F3F8
	v_max3_f32 v48, |v250|, |v251|, v48                        // 00000001D7C4: D1D30330 04C3F7FA
	v_max3_f32 v48, |v252|, |v253|, v48                        // 00000001D7CC: D1D30330 04C3FBFC
	v_max3_f32 v48, |v254|, |v255|, v48                        // 00000001D7D4: D1D30330 04C3FFFE
	ds_write_b32 v8, v48 offset:20992                          // 00000001D7DC: D81A5200 00003008
	v_sub_f32_e32 v52, v14, v15                                // 00000001D7E4: 04681F0E
	v_cndmask_b32_e64 v52, v52, 0, s[40:41]                    // 00000001D7E8: D1000034 00A10134
	v_mov_b32_e32 v14, v15                                     // 00000001D7F0: 7E1C030F
	v_mul_f32_e32 v52, s64, v52                                // 00000001D7F4: 0A686840
	v_exp_f32_e32 v52, v52                                     // 00000001D7F8: 7E684134
	s_waitcnt lgkmcnt(0)                                       // 00000001D7FC: BF8CC07F
	s_barrier                                                  // 00000001D800: BF8A0000
	ds_read_b32 v64, v7 offset:20992                           // 00000001D804: D86C5200 40000007
	ds_read_b32 v65, v7 offset:21056                           // 00000001D80C: D86C5240 41000007
	ds_read_b32 v66, v7 offset:21120                           // 00000001D814: D86C5280 42000007
	ds_read_b32 v67, v7 offset:21184                           // 00000001D81C: D86C52C0 43000007
	ds_read_b32 v68, v7 offset:21248                           // 00000001D824: D86C5300 44000007
	ds_read_b32 v69, v7 offset:21312                           // 00000001D82C: D86C5340 45000007
	ds_read_b32 v70, v7 offset:21376                           // 00000001D834: D86C5380 46000007
	ds_read_b32 v71, v7 offset:21440                           // 00000001D83C: D86C53C0 47000007
	ds_read_b32 v72, v7 offset:21504                           // 00000001D844: D86C5400 48000007
	ds_read_b32 v73, v7 offset:21568                           // 00000001D84C: D86C5440 49000007
	ds_read_b32 v74, v7 offset:21632                           // 00000001D854: D86C5480 4A000007
	ds_read_b32 v75, v7 offset:21696                           // 00000001D85C: D86C54C0 4B000007
	ds_read_b32 v76, v7 offset:21760                           // 00000001D864: D86C5500 4C000007
	ds_read_b32 v77, v7 offset:21824                           // 00000001D86C: D86C5540 4D000007
	ds_read_b32 v78, v7 offset:21888                           // 00000001D874: D86C5580 4E000007
	ds_read_b32 v79, v7 offset:21952                           // 00000001D87C: D86C55C0 4F000007
	v_mul_f32_e32 v41, v52, v41                                // 00000001D884: 0A525334
	v_mov_b32_e32 v15, v160                                    // 00000001D888: 7E1E03A0
	v_add_f32_e32 v15, v161, v15                               // 00000001D88C: 021E1FA1
	v_add_f32_e32 v15, v162, v15                               // 00000001D890: 021E1FA2
	v_add_f32_e32 v15, v163, v15                               // 00000001D894: 021E1FA3
	v_add_f32_e32 v15, v164, v15                               // 00000001D898: 021E1FA4
	v_add_f32_e32 v15, v165, v15                               // 00000001D89C: 021E1FA5
	v_add_f32_e32 v15, v166, v15                               // 00000001D8A0: 021E1FA6
	v_add_f32_e32 v15, v167, v15                               // 00000001D8A4: 021E1FA7
	v_add_f32_e32 v15, v168, v15                               // 00000001D8A8: 021E1FA8
	v_add_f32_e32 v15, v169, v15                               // 00000001D8AC: 021E1FA9
	v_add_f32_e32 v15, v170, v15                               // 00000001D8B0: 021E1FAA
	v_add_f32_e32 v15, v171, v15                               // 00000001D8B4: 021E1FAB
	v_add_f32_e32 v15, v172, v15                               // 00000001D8B8: 021E1FAC
	v_add_f32_e32 v15, v173, v15                               // 00000001D8BC: 021E1FAD
	v_add_f32_e32 v15, v174, v15                               // 00000001D8C0: 021E1FAE
	v_add_f32_e32 v15, v175, v15                               // 00000001D8C4: 021E1FAF
	v_add_f32_e32 v41, v15, v41                                // 00000001D8C8: 0252530F
	s_waitcnt lgkmcnt(0)                                       // 00000001D8CC: BF8CC07F
	v_max3_f32 v48, |v64|, |v65|, v48                          // 00000001D8D0: D1D30330 04C28340
	v_max3_f32 v48, |v66|, |v67|, v48                          // 00000001D8D8: D1D30330 04C28742
	v_max3_f32 v48, |v68|, |v69|, v48                          // 00000001D8E0: D1D30330 04C28B44
	v_max3_f32 v48, |v70|, |v71|, v48                          // 00000001D8E8: D1D30330 04C28F46
	v_max3_f32 v48, |v72|, |v73|, v48                          // 00000001D8F0: D1D30330 04C29348
	v_max3_f32 v48, |v74|, |v75|, v48                          // 00000001D8F8: D1D30330 04C2974A
	v_max3_f32 v48, |v76|, |v77|, v48                          // 00000001D900: D1D30330 04C29B4C
	v_max3_f32 v48, |v78|, |v79|, v48                          // 00000001D908: D1D30330 04C29F4E
	s_nop 2                                                    // 00000001D910: BF800002
	v_rcp_f32_e32 v48, v48                                     // 00000001D914: 7E604530
	s_nop 1                                                    // 00000001D918: BF800001
	v_mul_f32_e32 v48, 0x42fe0000, v48                         // 00000001D91C: 0A6060FF 42FE0000
	v_mul_f32_e32 v160, v48, v240                              // 00000001D924: 0B41E130
	v_mul_f32_e32 v161, v48, v241                              // 00000001D928: 0B43E330
	v_mul_f32_e32 v162, v48, v242                              // 00000001D92C: 0B45E530
	v_mul_f32_e32 v163, v48, v243                              // 00000001D930: 0B47E730
	v_mul_f32_e32 v164, v48, v244                              // 00000001D934: 0B49E930
	v_mul_f32_e32 v165, v48, v245                              // 00000001D938: 0B4BEB30
	v_mul_f32_e32 v166, v48, v246                              // 00000001D93C: 0B4DED30
	v_mul_f32_e32 v167, v48, v247                              // 00000001D940: 0B4FEF30
	v_mul_f32_e32 v168, v48, v248                              // 00000001D944: 0B51F130
	v_mul_f32_e32 v169, v48, v249                              // 00000001D948: 0B53F330
	v_mul_f32_e32 v170, v48, v250                              // 00000001D94C: 0B55F530
	v_mul_f32_e32 v171, v48, v251                              // 00000001D950: 0B57F730
	v_mul_f32_e32 v172, v48, v252                              // 00000001D954: 0B59F930
	v_mul_f32_e32 v173, v48, v253                              // 00000001D958: 0B5BFB30
	v_mul_f32_e32 v174, v48, v254                              // 00000001D95C: 0B5DFD30
	v_mul_f32_e32 v175, v48, v255                              // 00000001D960: 0B5FFF30
	v_cvt_i32_f32_e32 v160, v160                               // 00000001D964: 7F4011A0
	v_cvt_i32_f32_e32 v161, v161                               // 00000001D968: 7F4211A1
	v_cvt_i32_f32_e32 v162, v162                               // 00000001D96C: 7F4411A2
	v_cvt_i32_f32_e32 v163, v163                               // 00000001D970: 7F4611A3
	v_cvt_i32_f32_e32 v164, v164                               // 00000001D974: 7F4811A4
	v_cvt_i32_f32_e32 v165, v165                               // 00000001D978: 7F4A11A5
	v_cvt_i32_f32_e32 v166, v166                               // 00000001D97C: 7F4C11A6
	v_cvt_i32_f32_e32 v167, v167                               // 00000001D980: 7F4E11A7
	v_cvt_i32_f32_e32 v168, v168                               // 00000001D984: 7F5011A8
	v_cvt_i32_f32_e32 v169, v169                               // 00000001D988: 7F5211A9
	v_cvt_i32_f32_e32 v170, v170                               // 00000001D98C: 7F5411AA
	v_cvt_i32_f32_e32 v171, v171                               // 00000001D990: 7F5611AB
	v_cvt_i32_f32_e32 v172, v172                               // 00000001D994: 7F5811AC
	v_cvt_i32_f32_e32 v173, v173                               // 00000001D998: 7F5A11AD
	v_cvt_i32_f32_e32 v174, v174                               // 00000001D99C: 7F5C11AE
	v_cvt_i32_f32_e32 v175, v175                               // 00000001D9A0: 7F5E11AF
	v_perm_b32 v160, v161, v160, s53                           // 00000001D9A4: D1ED00A0 00D741A1
	v_perm_b32 v160, v162, v160, s54                           // 00000001D9AC: D1ED00A0 00DB41A2
	v_perm_b32 v160, v163, v160, s55                           // 00000001D9B4: D1ED00A0 00DF41A3
	v_perm_b32 v161, v165, v164, s53                           // 00000001D9BC: D1ED00A1 00D749A5
	v_perm_b32 v161, v166, v161, s54                           // 00000001D9C4: D1ED00A1 00DB43A6
	v_perm_b32 v161, v167, v161, s55                           // 00000001D9CC: D1ED00A1 00DF43A7
	v_perm_b32 v162, v169, v168, s53                           // 00000001D9D4: D1ED00A2 00D751A9
	v_perm_b32 v162, v170, v162, s54                           // 00000001D9DC: D1ED00A2 00DB45AA
	v_perm_b32 v162, v171, v162, s55                           // 00000001D9E4: D1ED00A2 00DF45AB
	v_perm_b32 v163, v173, v172, s53                           // 00000001D9EC: D1ED00A3 00D759AD
	v_perm_b32 v163, v174, v163, s54                           // 00000001D9F4: D1ED00A3 00DB47AE
	v_perm_b32 v163, v175, v163, s55                           // 00000001D9FC: D1ED00A3 00DF47AF
	ds_write_b32 v10, v160 offset:37376                        // 00000001DA04: D81A9200 0000A00A
	ds_write_b32 v10, v161 offset:38400                        // 00000001DA0C: D81A9600 0000A10A
	ds_write_b32 v10, v162 offset:39424                        // 00000001DA14: D81A9A00 0000A20A
	ds_write_b32 v10, v163 offset:40448                        // 00000001DA1C: D81A9E00 0000A30A
	v_add_f32_e32 v232, v232, v200                             // 00000001DA24: 03D191E8
	v_add_f32_e32 v233, v233, v201                             // 00000001DA28: 03D393E9
	v_add_f32_e32 v234, v234, v202                             // 00000001DA2C: 03D595EA
	v_add_f32_e32 v235, v235, v203                             // 00000001DA30: 03D797EB
	v_add_f32_e32 v236, v236, v204                             // 00000001DA34: 03D999EC
	v_add_f32_e32 v237, v237, v205                             // 00000001DA38: 03DB9BED
	v_add_f32_e32 v238, v238, v206                             // 00000001DA3C: 03DD9DEE
	v_add_f32_e32 v239, v239, v207                             // 00000001DA40: 03DF9FEF
	v_rcp_f32_e32 v47, v48                                     // 00000001DA44: 7E5E4530
	s_waitcnt lgkmcnt(0)                                       // 00000001DA48: BF8CC07F
	s_barrier                                                  // 00000001DA4C: BF8A0000
	ds_read_b64 v[160:161], v9 offset:37376                    // 00000001DA50: D8EC9200 A0000009
	ds_read_b64 v[162:163], v9 offset:37504                    // 00000001DA58: D8EC9280 A2000009
	ds_read_b64 v[164:165], v9 offset:38400                    // 00000001DA60: D8EC9600 A4000009
	ds_read_b64 v[166:167], v9 offset:38528                    // 00000001DA68: D8EC9680 A6000009
	ds_read_b64 v[168:169], v9 offset:39424                    // 00000001DA70: D8EC9A00 A8000009
	ds_read_b64 v[170:171], v9 offset:39552                    // 00000001DA78: D8EC9A80 AA000009
	ds_read_b64 v[172:173], v9 offset:40448                    // 00000001DA80: D8EC9E00 AC000009
	ds_read_b64 v[174:175], v9 offset:40576                    // 00000001DA88: D8EC9E80 AE000009
	s_waitcnt vmcnt(15)                                        // 00000001DA90: BF8C0F7F
	v_mfma_i32_16x16x32_i8 v[176:179], a[64:65], v[112:113], 0 // 00000001DA94: D3D700B0 0A02E140
	v_mfma_i32_16x16x32_i8 v[176:179], a[66:67], v[114:115], v[176:179]// 00000001DA9C: D3D700B0 0EC2E542
	buffer_load_dwordx4 a[112:115], v34, s[20:23], 0 offen offset:1024// 00000001DAA4: E05C1400 80857022
	v_mfma_i32_16x16x32_i8 v[176:179], a[68:69], v[116:117], v[176:179]// 00000001DAAC: D3D700B0 0EC2E944
	v_mfma_i32_16x16x32_i8 v[176:179], a[70:71], v[118:119], v[176:179]// 00000001DAB4: D3D700B0 0EC2ED46
	v_mfma_i32_16x16x32_i8 v[176:179], a[72:73], v[120:121], v[176:179]// 00000001DABC: D3D700B0 0EC2F148
	v_mfma_i32_16x16x32_i8 v[176:179], a[74:75], v[122:123], v[176:179]// 00000001DAC4: D3D700B0 0EC2F54A
	buffer_load_dwordx4 a[116:119], v35, s[20:23], 0 offen offset:1024// 00000001DACC: E05C1400 80857423
	v_mfma_i32_16x16x32_i8 v[176:179], a[76:77], v[124:125], v[176:179]// 00000001DAD4: D3D700B0 0EC2F94C
	v_mfma_i32_16x16x32_i8 v[176:179], a[78:79], v[126:127], v[176:179]// 00000001DADC: D3D700B0 0EC2FD4E
	v_mfma_i32_16x16x32_i8 v[180:183], a[80:81], v[112:113], 0 // 00000001DAE4: D3D700B4 0A02E150
	v_mfma_i32_16x16x32_i8 v[180:183], a[82:83], v[114:115], v[180:183]// 00000001DAEC: D3D700B4 0ED2E552
	buffer_load_dwordx4 a[120:123], v36, s[20:23], 0 offen offset:1024// 00000001DAF4: E05C1400 80857824
	v_mfma_i32_16x16x32_i8 v[180:183], a[84:85], v[116:117], v[180:183]// 00000001DAFC: D3D700B4 0ED2E954
	v_mfma_i32_16x16x32_i8 v[180:183], a[86:87], v[118:119], v[180:183]// 00000001DB04: D3D700B4 0ED2ED56
	v_mfma_i32_16x16x32_i8 v[180:183], a[88:89], v[120:121], v[180:183]// 00000001DB0C: D3D700B4 0ED2F158
	v_mfma_i32_16x16x32_i8 v[180:183], a[90:91], v[122:123], v[180:183]// 00000001DB14: D3D700B4 0ED2F55A
	buffer_load_dwordx4 a[124:127], v37, s[20:23], 0 offen offset:1024// 00000001DB1C: E05C1400 80857C25
	v_mfma_i32_16x16x32_i8 v[180:183], a[92:93], v[124:125], v[180:183]// 00000001DB24: D3D700B4 0ED2F95C
	s_lshr_b32 s57, s70, 4                                     // 00000001DB2C: 8F398446
	s_add_u32 s57, 48, s57                                     // 00000001DB30: 803939B0
	v_mfma_i32_16x16x32_i8 v[180:183], a[94:95], v[126:127], v[180:183]// 00000001DB34: D3D700B4 0ED2FD5E
	s_cmp_ge_u32 s57, s73                                      // 00000001DB3C: BF094939
	s_cselect_b32 s56, 0, s56                                  // 00000001DB40: 85383880
	v_mfma_i32_16x16x32_i8 v[184:187], a[64:65], v[128:129], 0 // 00000001DB44: D3D700B8 0A030140
	v_mfma_i32_16x16x32_i8 v[184:187], a[66:67], v[130:131], v[184:187]// 00000001DB4C: D3D700B8 0EE30542
	v_mfma_i32_16x16x32_i8 v[184:187], a[68:69], v[132:133], v[184:187]// 00000001DB54: D3D700B8 0EE30944
	v_mfma_i32_16x16x32_i8 v[184:187], a[70:71], v[134:135], v[184:187]// 00000001DB5C: D3D700B8 0EE30D46
	v_mfma_i32_16x16x32_i8 v[184:187], a[72:73], v[136:137], v[184:187]// 00000001DB64: D3D700B8 0EE31148
	v_mfma_i32_16x16x32_i8 v[184:187], a[74:75], v[138:139], v[184:187]// 00000001DB6C: D3D700B8 0EE3154A
	v_mfma_i32_16x16x32_i8 v[184:187], a[76:77], v[140:141], v[184:187]// 00000001DB74: D3D700B8 0EE3194C
	v_mfma_i32_16x16x32_i8 v[184:187], a[78:79], v[142:143], v[184:187]// 00000001DB7C: D3D700B8 0EE31D4E
	v_mfma_i32_16x16x32_i8 v[188:191], a[80:81], v[128:129], 0 // 00000001DB84: D3D700BC 0A030150
	v_mfma_i32_16x16x32_i8 v[188:191], a[82:83], v[130:131], v[188:191]// 00000001DB8C: D3D700BC 0EF30552
	v_mfma_i32_16x16x32_i8 v[188:191], a[84:85], v[132:133], v[188:191]// 00000001DB94: D3D700BC 0EF30954
	v_mfma_i32_16x16x32_i8 v[188:191], a[86:87], v[134:135], v[188:191]// 00000001DB9C: D3D700BC 0EF30D56
	v_mfma_i32_16x16x32_i8 v[188:191], a[88:89], v[136:137], v[188:191]// 00000001DBA4: D3D700BC 0EF31158
	v_mfma_i32_16x16x32_i8 v[188:191], a[90:91], v[138:139], v[188:191]// 00000001DBAC: D3D700BC 0EF3155A
	v_mfma_i32_16x16x32_i8 v[188:191], a[92:93], v[140:141], v[188:191]// 00000001DBB4: D3D700BC 0EF3195C
	v_mfma_i32_16x16x32_i8 v[188:191], a[94:95], v[142:143], v[188:191]// 00000001DBBC: D3D700BC 0EF31D5E
	v_mfma_i32_16x16x32_i8 v[192:195], a[64:65], v[144:145], 0 // 00000001DBC4: D3D700C0 0A032140
	v_mfma_i32_16x16x32_i8 v[192:195], a[66:67], v[146:147], v[192:195]// 00000001DBCC: D3D700C0 0F032542
	v_mfma_i32_16x16x32_i8 v[192:195], a[68:69], v[148:149], v[192:195]// 00000001DBD4: D3D700C0 0F032944
	v_mfma_i32_16x16x32_i8 v[192:195], a[70:71], v[150:151], v[192:195]// 00000001DBDC: D3D700C0 0F032D46
	v_mfma_i32_16x16x32_i8 v[192:195], a[72:73], v[152:153], v[192:195]// 00000001DBE4: D3D700C0 0F033148
	v_mfma_i32_16x16x32_i8 v[192:195], a[74:75], v[154:155], v[192:195]// 00000001DBEC: D3D700C0 0F03354A
	v_mfma_i32_16x16x32_i8 v[192:195], a[76:77], v[156:157], v[192:195]// 00000001DBF4: D3D700C0 0F03394C
	v_mfma_i32_16x16x32_i8 v[192:195], a[78:79], v[158:159], v[192:195]// 00000001DBFC: D3D700C0 0F033D4E
	v_mfma_i32_16x16x32_i8 v[196:199], a[80:81], v[144:145], 0 // 00000001DC04: D3D700C4 0A032150
	v_mfma_i32_16x16x32_i8 v[196:199], a[82:83], v[146:147], v[196:199]// 00000001DC0C: D3D700C4 0F132552
	v_mfma_i32_16x16x32_i8 v[196:199], a[84:85], v[148:149], v[196:199]// 00000001DC14: D3D700C4 0F132954
	v_mfma_i32_16x16x32_i8 v[196:199], a[86:87], v[150:151], v[196:199]// 00000001DC1C: D3D700C4 0F132D56
	v_mfma_i32_16x16x32_i8 v[196:199], a[88:89], v[152:153], v[196:199]// 00000001DC24: D3D700C4 0F133158
	v_mfma_i32_16x16x32_i8 v[196:199], a[90:91], v[154:155], v[196:199]// 00000001DC2C: D3D700C4 0F13355A
	v_mfma_i32_16x16x32_i8 v[196:199], a[92:93], v[156:157], v[196:199]// 00000001DC34: D3D700C4 0F13395C
	v_mfma_i32_16x16x32_i8 v[196:199], a[94:95], v[158:159], v[196:199]// 00000001DC3C: D3D700C4 0F133D5E
	v_mfma_i32_16x16x32_i8 v[200:203], a[64:65], v[160:161], 0 // 00000001DC44: D3D700C8 0A034140
	v_mfma_i32_16x16x32_i8 v[200:203], a[66:67], v[162:163], v[200:203]// 00000001DC4C: D3D700C8 0F234542
	v_mfma_i32_16x16x32_i8 v[200:203], a[68:69], v[164:165], v[200:203]// 00000001DC54: D3D700C8 0F234944
	v_mfma_i32_16x16x32_i8 v[200:203], a[70:71], v[166:167], v[200:203]// 00000001DC5C: D3D700C8 0F234D46
	v_mfma_i32_16x16x32_i8 v[200:203], a[72:73], v[168:169], v[200:203]// 00000001DC64: D3D700C8 0F235148
	v_mfma_i32_16x16x32_i8 v[200:203], a[74:75], v[170:171], v[200:203]// 00000001DC6C: D3D700C8 0F23554A
	v_mfma_i32_16x16x32_i8 v[200:203], a[76:77], v[172:173], v[200:203]// 00000001DC74: D3D700C8 0F23594C
	v_mfma_i32_16x16x32_i8 v[200:203], a[78:79], v[174:175], v[200:203]// 00000001DC7C: D3D700C8 0F235D4E
	v_mfma_i32_16x16x32_i8 v[204:207], a[80:81], v[160:161], 0 // 00000001DC84: D3D700CC 0A034150
	v_mfma_i32_16x16x32_i8 v[204:207], a[82:83], v[162:163], v[204:207]// 00000001DC8C: D3D700CC 0F334552
	v_mfma_i32_16x16x32_i8 v[204:207], a[84:85], v[164:165], v[204:207]// 00000001DC94: D3D700CC 0F334954
	v_mfma_i32_16x16x32_i8 v[204:207], a[86:87], v[166:167], v[204:207]// 00000001DC9C: D3D700CC 0F334D56
	v_mfma_i32_16x16x32_i8 v[204:207], a[88:89], v[168:169], v[204:207]// 00000001DCA4: D3D700CC 0F335158
	v_mfma_i32_16x16x32_i8 v[204:207], a[90:91], v[170:171], v[204:207]// 00000001DCAC: D3D700CC 0F33555A
	v_mfma_i32_16x16x32_i8 v[204:207], a[92:93], v[172:173], v[204:207]// 00000001DCB4: D3D700CC 0F33595C
	v_mfma_i32_16x16x32_i8 v[204:207], a[94:95], v[174:175], v[204:207]// 00000001DCBC: D3D700CC 0F335D5E
	v_add_u32_e32 v1, s56, v1                                  // 00000001DCC4: 68020238
	s_addk_i32 s70, 0x100                                      // 00000001DCC8: B7460100
	s_cmp_lt_i32 s70, s71                                      // 00000001DCCC: BF044746
	s_cbranch_scc0 label_77A4                                  // 00000001DCD0: BF8408EF
	s_waitcnt vmcnt(8) lgkmcnt(0)                              // 00000001DCD4: BF8C0078
	v_mul_u32_u24_dpp v64, v16, v54 row_newbcast:0 row_mask:0xf bank_mask:0xf// 00000001DCD8: 10806CFA FF015010
	v_mul_u32_u24_dpp v65, v16, v54 row_newbcast:4 row_mask:0xf bank_mask:0xf// 00000001DCE0: 10826CFA FF015410
	v_mul_u32_u24_dpp v66, v16, v54 row_newbcast:8 row_mask:0xf bank_mask:0xf// 00000001DCE8: 10846CFA FF015810
	v_mul_u32_u24_dpp v67, v16, v54 row_newbcast:12 row_mask:0xf bank_mask:0xf// 00000001DCF0: 10866CFA FF015C10
	v_add_u32_e32 v22, v64, v5                                 // 00000001DCF8: 682C0B40
	v_add_u32_e32 v23, v65, v5                                 // 00000001DCFC: 682E0B41
	v_add_u32_e32 v24, v66, v5                                 // 00000001DD00: 68300B42
	v_add_u32_e32 v25, v67, v5                                 // 00000001DD04: 68320B43
	v_mul_u32_u24_dpp v64, v16, v63 quad_perm:[0,0,0,0] row_mask:0xf bank_mask:0xf// 00000001DD08: 10807EFA FF000010
	v_add_u32_e32 v2, v64, v59                                 // 00000001DD10: 68047740
	v_mul_u32_u24_dpp v64, v16, v63 quad_perm:[0,0,0,0] row_mask:0xf bank_mask:0xf// 00000001DD14: 10807EFA FF000010
	v_add_u32_e32 v55, v64, v60                                // 00000001DD1C: 686E7940
	v_mfma_i32_16x16x32_i8 v[112:115], a[32:33], v[80:81], 0   // 00000001DD20: D3D70070 0A02A120
	v_mfma_i32_16x16x32_i8 v[112:115], a[34:35], v[82:83], v[112:115]// 00000001DD28: D3D70070 0DC2A522
	buffer_load_dwordx4 a[0:3], v22, s[16:19], 0 offen         // 00000001DD30: E05C1000 80840016
	v_mfma_i32_16x16x32_i8 v[112:115], a[36:37], v[84:85], v[112:115]// 00000001DD38: D3D70070 0DC2A924
	v_mfma_i32_16x16x32_i8 v[112:115], a[38:39], v[86:87], v[112:115]// 00000001DD40: D3D70070 0DC2AD26
	buffer_load_dword v17, v1, s[24:27], 0 offen               // 00000001DD48: E0501000 80061101
	v_mfma_i32_16x16x32_i8 v[116:119], a[40:41], v[80:81], 0   // 00000001DD50: D3D70074 0A02A128
	v_mfma_i32_16x16x32_i8 v[116:119], a[42:43], v[82:83], v[116:119]// 00000001DD58: D3D70074 0DD2A52A
	buffer_load_dwordx4 a[4:7], v22, s[16:19], 0 offen offset:1024// 00000001DD60: E05C1400 80840416
	v_mfma_i32_16x16x32_i8 v[116:119], a[44:45], v[84:85], v[116:119]// 00000001DD68: D3D70074 0DD2A92C
	v_mfma_i32_16x16x32_i8 v[116:119], a[46:47], v[86:87], v[116:119]// 00000001DD70: D3D70074 0DD2AD2E
	v_mfma_i32_16x16x32_i8 v[120:123], a[48:49], v[80:81], 0   // 00000001DD78: D3D70078 0A02A130
	v_mfma_i32_16x16x32_i8 v[120:123], a[50:51], v[82:83], v[120:123]// 00000001DD80: D3D70078 0DE2A532
	buffer_load_dwordx4 a[8:11], v23, s[16:19], 0 offen        // 00000001DD88: E05C1000 80840817
	v_mfma_i32_16x16x32_i8 v[120:123], a[52:53], v[84:85], v[120:123]// 00000001DD90: D3D70078 0DE2A934
	v_mfma_i32_16x16x32_i8 v[120:123], a[54:55], v[86:87], v[120:123]// 00000001DD98: D3D70078 0DE2AD36
	v_mfma_i32_16x16x32_i8 v[124:127], a[56:57], v[80:81], 0   // 00000001DDA0: D3D7007C 0A02A138
	v_mfma_i32_16x16x32_i8 v[124:127], a[58:59], v[82:83], v[124:127]// 00000001DDA8: D3D7007C 0DF2A53A
	buffer_load_dwordx4 a[12:15], v23, s[16:19], 0 offen offset:1024// 00000001DDB0: E05C1400 80840C17
	v_mfma_i32_16x16x32_i8 v[124:127], a[60:61], v[84:85], v[124:127]// 00000001DDB8: D3D7007C 0DF2A93C
	v_mfma_i32_16x16x32_i8 v[124:127], a[62:63], v[86:87], v[124:127]// 00000001DDC0: D3D7007C 0DF2AD3E
	v_mfma_i32_16x16x32_i8 v[128:131], a[32:33], v[88:89], 0   // 00000001DDC8: D3D70080 0A02B120
	v_mfma_i32_16x16x32_i8 v[128:131], a[34:35], v[90:91], v[128:131]// 00000001DDD0: D3D70080 0E02B522
	v_mfma_i32_16x16x32_i8 v[128:131], a[36:37], v[92:93], v[128:131]// 00000001DDD8: D3D70080 0E02B924
	v_mfma_i32_16x16x32_i8 v[128:131], a[38:39], v[94:95], v[128:131]// 00000001DDE0: D3D70080 0E02BD26
	v_mfma_i32_16x16x32_i8 v[132:135], a[40:41], v[88:89], 0   // 00000001DDE8: D3D70084 0A02B128
	v_mfma_i32_16x16x32_i8 v[132:135], a[42:43], v[90:91], v[132:135]// 00000001DDF0: D3D70084 0E12B52A
	v_mfma_i32_16x16x32_i8 v[132:135], a[44:45], v[92:93], v[132:135]// 00000001DDF8: D3D70084 0E12B92C
	v_mfma_i32_16x16x32_i8 v[132:135], a[46:47], v[94:95], v[132:135]// 00000001DE00: D3D70084 0E12BD2E
	v_mfma_i32_16x16x32_i8 v[136:139], a[48:49], v[88:89], 0   // 00000001DE08: D3D70088 0A02B130
	v_mfma_i32_16x16x32_i8 v[136:139], a[50:51], v[90:91], v[136:139]// 00000001DE10: D3D70088 0E22B532
	v_mfma_i32_16x16x32_i8 v[136:139], a[52:53], v[92:93], v[136:139]// 00000001DE18: D3D70088 0E22B934
	v_mfma_i32_16x16x32_i8 v[136:139], a[54:55], v[94:95], v[136:139]// 00000001DE20: D3D70088 0E22BD36
	v_mfma_i32_16x16x32_i8 v[140:143], a[56:57], v[88:89], 0   // 00000001DE28: D3D7008C 0A02B138
	v_mfma_i32_16x16x32_i8 v[140:143], a[58:59], v[90:91], v[140:143]// 00000001DE30: D3D7008C 0E32B53A
	v_mfma_i32_16x16x32_i8 v[140:143], a[60:61], v[92:93], v[140:143]// 00000001DE38: D3D7008C 0E32B93C
	v_mfma_i32_16x16x32_i8 v[140:143], a[62:63], v[94:95], v[140:143]// 00000001DE40: D3D7008C 0E32BD3E
	v_mfma_i32_16x16x32_i8 v[144:147], a[32:33], v[96:97], 0   // 00000001DE48: D3D70090 0A02C120
	v_mfma_i32_16x16x32_i8 v[144:147], a[34:35], v[98:99], v[144:147]// 00000001DE50: D3D70090 0E42C522
	v_mfma_i32_16x16x32_i8 v[144:147], a[36:37], v[100:101], v[144:147]// 00000001DE58: D3D70090 0E42C924
	v_mfma_i32_16x16x32_i8 v[144:147], a[38:39], v[102:103], v[144:147]// 00000001DE60: D3D70090 0E42CD26
	v_mfma_i32_16x16x32_i8 v[148:151], a[40:41], v[96:97], 0   // 00000001DE68: D3D70094 0A02C128
	v_mfma_i32_16x16x32_i8 v[148:151], a[42:43], v[98:99], v[148:151]// 00000001DE70: D3D70094 0E52C52A
	v_mfma_i32_16x16x32_i8 v[148:151], a[44:45], v[100:101], v[148:151]// 00000001DE78: D3D70094 0E52C92C
	v_mfma_i32_16x16x32_i8 v[148:151], a[46:47], v[102:103], v[148:151]// 00000001DE80: D3D70094 0E52CD2E
	v_mfma_i32_16x16x32_i8 v[152:155], a[48:49], v[96:97], 0   // 00000001DE88: D3D70098 0A02C130
	v_mfma_i32_16x16x32_i8 v[152:155], a[50:51], v[98:99], v[152:155]// 00000001DE90: D3D70098 0E62C532
	v_mfma_i32_16x16x32_i8 v[152:155], a[52:53], v[100:101], v[152:155]// 00000001DE98: D3D70098 0E62C934
	v_mfma_i32_16x16x32_i8 v[152:155], a[54:55], v[102:103], v[152:155]// 00000001DEA0: D3D70098 0E62CD36
	v_mfma_i32_16x16x32_i8 v[156:159], a[56:57], v[96:97], 0   // 00000001DEA8: D3D7009C 0A02C138
	v_mfma_i32_16x16x32_i8 v[156:159], a[58:59], v[98:99], v[156:159]// 00000001DEB0: D3D7009C 0E72C53A
	v_mfma_i32_16x16x32_i8 v[156:159], a[60:61], v[100:101], v[156:159]// 00000001DEB8: D3D7009C 0E72C93C
	v_mfma_i32_16x16x32_i8 v[156:159], a[62:63], v[102:103], v[156:159]// 00000001DEC0: D3D7009C 0E72CD3E
	v_mfma_i32_16x16x32_i8 v[160:163], a[32:33], v[104:105], 0 // 00000001DEC8: D3D700A0 0A02D120
	v_mfma_i32_16x16x32_i8 v[160:163], a[34:35], v[106:107], v[160:163]// 00000001DED0: D3D700A0 0E82D522
	v_mfma_i32_16x16x32_i8 v[160:163], a[36:37], v[108:109], v[160:163]// 00000001DED8: D3D700A0 0E82D924
	v_mfma_i32_16x16x32_i8 v[160:163], a[38:39], v[110:111], v[160:163]// 00000001DEE0: D3D700A0 0E82DD26
	v_mfma_i32_16x16x32_i8 v[164:167], a[40:41], v[104:105], 0 // 00000001DEE8: D3D700A4 0A02D128
	v_mfma_i32_16x16x32_i8 v[164:167], a[42:43], v[106:107], v[164:167]// 00000001DEF0: D3D700A4 0E92D52A
	v_mfma_i32_16x16x32_i8 v[164:167], a[44:45], v[108:109], v[164:167]// 00000001DEF8: D3D700A4 0E92D92C
	v_mfma_i32_16x16x32_i8 v[164:167], a[46:47], v[110:111], v[164:167]// 00000001DF00: D3D700A4 0E92DD2E
	v_mfma_i32_16x16x32_i8 v[168:171], a[48:49], v[104:105], 0 // 00000001DF08: D3D700A8 0A02D130
	v_mfma_i32_16x16x32_i8 v[168:171], a[50:51], v[106:107], v[168:171]// 00000001DF10: D3D700A8 0EA2D532
	v_mfma_i32_16x16x32_i8 v[168:171], a[52:53], v[108:109], v[168:171]// 00000001DF18: D3D700A8 0EA2D934
	v_mfma_i32_16x16x32_i8 v[168:171], a[54:55], v[110:111], v[168:171]// 00000001DF20: D3D700A8 0EA2DD36
	v_mfma_i32_16x16x32_i8 v[172:175], a[56:57], v[104:105], 0 // 00000001DF28: D3D700AC 0A02D138
	v_mfma_i32_16x16x32_i8 v[172:175], a[58:59], v[106:107], v[172:175]// 00000001DF30: D3D700AC 0EB2D53A
	v_mfma_i32_16x16x32_i8 v[172:175], a[60:61], v[108:109], v[172:175]// 00000001DF38: D3D700AC 0EB2D93C
	v_mfma_i32_16x16x32_i8 v[172:175], a[62:63], v[110:111], v[172:175]// 00000001DF40: D3D700AC 0EB2DD3E
	buffer_load_dword v42, v2, s[32:35], 0 offen               // 00000001DF48: E0501000 80082A02
	v_mov_b32_dpp v64, v43 row_shr:4 row_mask:0xf bank_mask:0xf// 00000001DF50: 7E8002FA FF01142B
	v_mov_b32_dpp v65, v43 row_shl:4 row_mask:0xf bank_mask:0xf// 00000001DF58: 7E8202FA FF01042B
	v_cndmask_b32_e64 v248, v43, v64, s[44:45]                 // 00000001DF60: D10000F8 00B2812B
	v_cndmask_b32_e64 v249, v65, v43, s[44:45]                 // 00000001DF68: D10000F9 00B25741
	v_mov_b32_dpp v64, v248 row_shr:8 row_mask:0xf bank_mask:0xf// 00000001DF70: 7E8002FA FF0118F8
	v_mov_b32_dpp v65, v248 row_shl:8 row_mask:0xf bank_mask:0xf// 00000001DF78: 7E8202FA FF0108F8
	v_mov_b32_dpp v66, v249 row_shr:8 row_mask:0xf bank_mask:0xf// 00000001DF80: 7E8402FA FF0118F9
	v_mov_b32_dpp v67, v249 row_shl:8 row_mask:0xf bank_mask:0xf// 00000001DF88: 7E8602FA FF0108F9
	v_mov_b32_e32 v68, v248                                    // 00000001DF90: 7E8803F8
	v_mov_b32_e32 v69, v249                                    // 00000001DF94: 7E8A03F9
	v_cndmask_b32_e64 v248, v68, v64, s[42:43]                 // 00000001DF98: D10000F8 00AA8144
	v_cndmask_b32_e64 v250, v68, v65, s[78:79]                 // 00000001DFA0: D10000FA 013A8344
	v_cndmask_b32_e64 v249, v69, v66, s[42:43]                 // 00000001DFA8: D10000F9 00AA8545
	v_cndmask_b32_e64 v251, v69, v67, s[78:79]                 // 00000001DFB0: D10000FB 013A8745
	v_mov_b32_dpp v64, v58 row_shr:4 row_mask:0xf bank_mask:0xf// 00000001DFB8: 7E8002FA FF01143A
	v_mov_b32_dpp v65, v58 row_shl:4 row_mask:0xf bank_mask:0xf// 00000001DFC0: 7E8202FA FF01043A
	v_cndmask_b32_e64 v252, v58, v64, s[44:45]                 // 00000001DFC8: D10000FC 00B2813A
	v_cndmask_b32_e64 v253, v65, v58, s[44:45]                 // 00000001DFD0: D10000FD 00B27541
	v_mov_b32_dpp v64, v252 row_shr:8 row_mask:0xf bank_mask:0xf// 00000001DFD8: 7E8002FA FF0118FC
	v_mov_b32_dpp v65, v252 row_shl:8 row_mask:0xf bank_mask:0xf// 00000001DFE0: 7E8202FA FF0108FC
	v_mov_b32_dpp v66, v253 row_shr:8 row_mask:0xf bank_mask:0xf// 00000001DFE8: 7E8402FA FF0118FD
	v_mov_b32_dpp v67, v253 row_shl:8 row_mask:0xf bank_mask:0xf// 00000001DFF0: 7E8602FA FF0108FD
	v_mov_b32_e32 v68, v252                                    // 00000001DFF8: 7E8803FC
	v_mov_b32_e32 v69, v253                                    // 00000001DFFC: 7E8A03FD
	v_cndmask_b32_e64 v252, v68, v64, s[42:43]                 // 00000001E000: D10000FC 00AA8144
	v_cndmask_b32_e64 v254, v68, v65, s[78:79]                 // 00000001E008: D10000FE 013A8344
	v_cndmask_b32_e64 v253, v69, v66, s[42:43]                 // 00000001E010: D10000FD 00AA8545
	v_cndmask_b32_e64 v255, v69, v67, s[78:79]                 // 00000001E018: D10000FF 013A8745
	buffer_load_dword v57, v55, s[36:39], 0 offen              // 00000001E020: E0501000 80093937
	v_cvt_f32_i32_e32 v112, v112                               // 00000001E028: 7EE00B70
	v_cvt_f32_i32_e32 v113, v113                               // 00000001E02C: 7EE20B71
	v_cvt_f32_i32_e32 v114, v114                               // 00000001E030: 7EE40B72
	v_cvt_f32_i32_e32 v115, v115                               // 00000001E034: 7EE60B73
	v_cvt_f32_i32_e32 v116, v116                               // 00000001E038: 7EE80B74
	v_cvt_f32_i32_e32 v117, v117                               // 00000001E03C: 7EEA0B75
	v_cvt_f32_i32_e32 v118, v118                               // 00000001E040: 7EEC0B76
	v_cvt_f32_i32_e32 v119, v119                               // 00000001E044: 7EEE0B77
	v_cvt_f32_i32_e32 v120, v120                               // 00000001E048: 7EF00B78
	v_cvt_f32_i32_e32 v121, v121                               // 00000001E04C: 7EF20B79
	v_cvt_f32_i32_e32 v122, v122                               // 00000001E050: 7EF40B7A
	v_cvt_f32_i32_e32 v123, v123                               // 00000001E054: 7EF60B7B
	v_cvt_f32_i32_e32 v124, v124                               // 00000001E058: 7EF80B7C
	v_cvt_f32_i32_e32 v125, v125                               // 00000001E05C: 7EFA0B7D
	v_cvt_f32_i32_e32 v126, v126                               // 00000001E060: 7EFC0B7E
	v_cvt_f32_i32_e32 v127, v127                               // 00000001E064: 7EFE0B7F
	v_mul_f32_e32 v112, v18, v112                              // 00000001E068: 0AE0E112
	v_mul_f32_e32 v113, v18, v113                              // 00000001E06C: 0AE2E312
	v_mul_f32_e32 v114, v18, v114                              // 00000001E070: 0AE4E512
	v_mul_f32_e32 v115, v18, v115                              // 00000001E074: 0AE6E712
	v_mul_f32_e32 v116, v18, v116                              // 00000001E078: 0AE8E912
	v_mul_f32_e32 v117, v18, v117                              // 00000001E07C: 0AEAEB12
	v_mul_f32_e32 v118, v18, v118                              // 00000001E080: 0AECED12
	v_mul_f32_e32 v119, v18, v119                              // 00000001E084: 0AEEEF12
	v_mul_f32_e32 v120, v18, v120                              // 00000001E088: 0AF0F112
	v_mul_f32_e32 v121, v18, v121                              // 00000001E08C: 0AF2F312
	v_mul_f32_e32 v122, v18, v122                              // 00000001E090: 0AF4F512
	v_mul_f32_e32 v123, v18, v123                              // 00000001E094: 0AF6F712
	v_mul_f32_e32 v124, v18, v124                              // 00000001E098: 0AF8F912
	v_mul_f32_e32 v125, v18, v125                              // 00000001E09C: 0AFAFB12
	v_mul_f32_e32 v126, v18, v126                              // 00000001E0A0: 0AFCFD12
	v_mul_f32_e32 v127, v18, v127                              // 00000001E0A4: 0AFEFF12
	buffer_load_dwordx4 a[16:19], v24, s[16:19], 0 offen       // 00000001E0A8: E05C1000 80841018
	v_mul_f32_dpp v112, v248, v112 quad_perm:[0,0,0,0] row_mask:0xf bank_mask:0xf// 00000001E0B0: 0AE0E0FA FF0000F8
	v_mul_f32_dpp v113, v248, v113 quad_perm:[1,1,1,1] row_mask:0xf bank_mask:0xf// 00000001E0B8: 0AE2E2FA FF0055F8
	v_mul_f32_dpp v114, v248, v114 quad_perm:[2,2,2,2] row_mask:0xf bank_mask:0xf// 00000001E0C0: 0AE4E4FA FF00AAF8
	v_mul_f32_dpp v115, v248, v115 quad_perm:[3,3,3,3] row_mask:0xf bank_mask:0xf// 00000001E0C8: 0AE6E6FA FF00FFF8
	v_mul_f32_dpp v116, v249, v116 quad_perm:[0,0,0,0] row_mask:0xf bank_mask:0xf// 00000001E0D0: 0AE8E8FA FF0000F9
	v_mul_f32_dpp v117, v249, v117 quad_perm:[1,1,1,1] row_mask:0xf bank_mask:0xf// 00000001E0D8: 0AEAEAFA FF0055F9
	v_mul_f32_dpp v118, v249, v118 quad_perm:[2,2,2,2] row_mask:0xf bank_mask:0xf// 00000001E0E0: 0AECECFA FF00AAF9
	v_mul_f32_dpp v119, v249, v119 quad_perm:[3,3,3,3] row_mask:0xf bank_mask:0xf// 00000001E0E8: 0AEEEEFA FF00FFF9
	v_mul_f32_dpp v120, v250, v120 quad_perm:[0,0,0,0] row_mask:0xf bank_mask:0xf// 00000001E0F0: 0AF0F0FA FF0000FA
	v_mul_f32_dpp v121, v250, v121 quad_perm:[1,1,1,1] row_mask:0xf bank_mask:0xf// 00000001E0F8: 0AF2F2FA FF0055FA
	v_mul_f32_dpp v122, v250, v122 quad_perm:[2,2,2,2] row_mask:0xf bank_mask:0xf// 00000001E100: 0AF4F4FA FF00AAFA
	v_mul_f32_dpp v123, v250, v123 quad_perm:[3,3,3,3] row_mask:0xf bank_mask:0xf// 00000001E108: 0AF6F6FA FF00FFFA
	v_mul_f32_dpp v124, v251, v124 quad_perm:[0,0,0,0] row_mask:0xf bank_mask:0xf// 00000001E110: 0AF8F8FA FF0000FB
	v_mul_f32_dpp v125, v251, v125 quad_perm:[1,1,1,1] row_mask:0xf bank_mask:0xf// 00000001E118: 0AFAFAFA FF0055FB
	v_mul_f32_dpp v126, v251, v126 quad_perm:[2,2,2,2] row_mask:0xf bank_mask:0xf// 00000001E120: 0AFCFCFA FF00AAFB
	v_mul_f32_dpp v127, v251, v127 quad_perm:[3,3,3,3] row_mask:0xf bank_mask:0xf// 00000001E128: 0AFEFEFA FF00FFFB
	buffer_load_dwordx4 a[20:23], v24, s[16:19], 0 offen offset:1024// 00000001E130: E05C1400 80841418
	v_mov_b32_e32 v48, v112                                    // 00000001E138: 7E600370
	v_max3_f32 v48, v112, v113, v48                            // 00000001E13C: D1D30030 04C2E370
	v_max3_f32 v48, v114, v115, v48                            // 00000001E144: D1D30030 04C2E772
	v_max3_f32 v48, v116, v117, v48                            // 00000001E14C: D1D30030 04C2EB74
	v_max3_f32 v48, v118, v119, v48                            // 00000001E154: D1D30030 04C2EF76
	v_max3_f32 v48, v120, v121, v48                            // 00000001E15C: D1D30030 04C2F378
	v_max3_f32 v48, v122, v123, v48                            // 00000001E164: D1D30030 04C2F77A
	v_max3_f32 v48, v124, v125, v48                            // 00000001E16C: D1D30030 04C2FB7C
	v_max3_f32 v48, v126, v127, v48                            // 00000001E174: D1D30030 04C2FF7E
	ds_write_b32 v8, v48 offset:16896                          // 00000001E17C: D81A4200 00003008
	buffer_load_dwordx4 a[24:27], v25, s[16:19], 0 offen       // 00000001E184: E05C1000 80841819
	v_mul_u32_u24_dpp v64, v16, v54 row_newbcast:1 row_mask:0xf bank_mask:0xf// 00000001E18C: 10806CFA FF015110
	v_mul_u32_u24_dpp v65, v16, v54 row_newbcast:5 row_mask:0xf bank_mask:0xf// 00000001E194: 10826CFA FF015510
	v_mul_u32_u24_dpp v66, v16, v54 row_newbcast:9 row_mask:0xf bank_mask:0xf// 00000001E19C: 10846CFA FF015910
	v_mul_u32_u24_dpp v67, v16, v54 row_newbcast:13 row_mask:0xf bank_mask:0xf// 00000001E1A4: 10866CFA FF015D10
	v_add_u32_e32 v30, v64, v6                                 // 00000001E1AC: 683C0D40
	v_add_u32_e32 v31, v65, v6                                 // 00000001E1B0: 683E0D41
	v_add_u32_e32 v32, v66, v6                                 // 00000001E1B4: 68400D42
	v_add_u32_e32 v33, v67, v6                                 // 00000001E1B8: 68420D43
	v_mul_f32_e32 v208, v49, v208                              // 00000001E1BC: 0BA1A131
	v_mul_f32_e32 v209, v49, v209                              // 00000001E1C0: 0BA3A331
	v_mul_f32_e32 v210, v49, v210                              // 00000001E1C4: 0BA5A531
	v_mul_f32_e32 v211, v49, v211                              // 00000001E1C8: 0BA7A731
	v_mul_f32_e32 v212, v49, v212                              // 00000001E1CC: 0BA9A931
	v_mul_f32_e32 v213, v49, v213                              // 00000001E1D0: 0BABAB31
	v_mul_f32_e32 v214, v49, v214                              // 00000001E1D4: 0BADAD31
	v_mul_f32_e32 v215, v49, v215                              // 00000001E1D8: 0BAFAF31
	s_waitcnt lgkmcnt(0)                                       // 00000001E1DC: BF8CC07F
	s_barrier                                                  // 00000001E1E0: BF8A0000
	ds_read_b32 v64, v7 offset:16896                           // 00000001E1E4: D86C4200 40000007
	ds_read_b32 v65, v7 offset:16960                           // 00000001E1EC: D86C4240 41000007
	ds_read_b32 v66, v7 offset:17024                           // 00000001E1F4: D86C4280 42000007
	ds_read_b32 v67, v7 offset:17088                           // 00000001E1FC: D86C42C0 43000007
	ds_read_b32 v68, v7 offset:17152                           // 00000001E204: D86C4300 44000007
	ds_read_b32 v69, v7 offset:17216                           // 00000001E20C: D86C4340 45000007
	ds_read_b32 v70, v7 offset:17280                           // 00000001E214: D86C4380 46000007
	ds_read_b32 v71, v7 offset:17344                           // 00000001E21C: D86C43C0 47000007
	ds_read_b32 v72, v7 offset:17408                           // 00000001E224: D86C4400 48000007
	ds_read_b32 v73, v7 offset:17472                           // 00000001E22C: D86C4440 49000007
	ds_read_b32 v74, v7 offset:17536                           // 00000001E234: D86C4480 4A000007
	ds_read_b32 v75, v7 offset:17600                           // 00000001E23C: D86C44C0 4B000007
	ds_read_b32 v76, v7 offset:17664                           // 00000001E244: D86C4500 4C000007
	ds_read_b32 v77, v7 offset:17728                           // 00000001E24C: D86C4540 4D000007
	ds_read_b32 v78, v7 offset:17792                           // 00000001E254: D86C4580 4E000007
	ds_read_b32 v79, v7 offset:17856                           // 00000001E25C: D86C45C0 4F000007
	buffer_load_dwordx4 a[28:31], v25, s[16:19], 0 offen offset:1024// 00000001E264: E05C1400 80841C19
	v_cvt_f32_i32_e32 v176, v176                               // 00000001E26C: 7F600BB0
	v_cvt_f32_i32_e32 v177, v177                               // 00000001E270: 7F620BB1
	v_cvt_f32_i32_e32 v178, v178                               // 00000001E274: 7F640BB2
	v_cvt_f32_i32_e32 v179, v179                               // 00000001E278: 7F660BB3
	v_cvt_f32_i32_e32 v180, v180                               // 00000001E27C: 7F680BB4
	v_cvt_f32_i32_e32 v181, v181                               // 00000001E280: 7F6A0BB5
	v_cvt_f32_i32_e32 v182, v182                               // 00000001E284: 7F6C0BB6
	v_cvt_f32_i32_e32 v183, v183                               // 00000001E288: 7F6E0BB7
	v_mul_f32_e32 v176, v44, v176                              // 00000001E28C: 0B61612C
	v_mul_f32_e32 v177, v44, v177                              // 00000001E290: 0B63632C
	v_mul_f32_e32 v178, v44, v178                              // 00000001E294: 0B65652C
	v_mul_f32_e32 v179, v44, v179                              // 00000001E298: 0B67672C
	v_mul_f32_e32 v180, v44, v180                              // 00000001E29C: 0B69692C
	v_mul_f32_e32 v181, v44, v181                              // 00000001E2A0: 0B6B6B2C
	v_mul_f32_e32 v182, v44, v182                              // 00000001E2A4: 0B6D6D2C
	v_mul_f32_e32 v183, v44, v183                              // 00000001E2A8: 0B6F6F2C
	s_waitcnt lgkmcnt(0)                                       // 00000001E2AC: BF8CC07F
	v_max3_f32 v48, v64, v65, v48                              // 00000001E2B0: D1D30030 04C28340
	v_max3_f32 v48, v66, v67, v48                              // 00000001E2B8: D1D30030 04C28742
	v_max3_f32 v48, v68, v69, v48                              // 00000001E2C0: D1D30030 04C28B44
	v_max3_f32 v48, v70, v71, v48                              // 00000001E2C8: D1D30030 04C28F46
	v_max3_f32 v48, v72, v73, v48                              // 00000001E2D0: D1D30030 04C29348
	v_max3_f32 v48, v74, v75, v48                              // 00000001E2D8: D1D30030 04C2974A
	v_max3_f32 v48, v76, v77, v48                              // 00000001E2E0: D1D30030 04C29B4C
	v_max3_f32 v48, v78, v79, v48                              // 00000001E2E8: D1D30030 04C29F4E
	buffer_load_dwordx4 a[64:67], v30, s[20:23], 0 offen       // 00000001E2F0: E05C1000 8085401E
	v_mov_b32_e32 v64, 0xff800000                              // 00000001E2F8: 7E8002FF FF800000
	v_cmp_eq_u32_e64 s[40:41], v64, v11                        // 00000001E300: D0CA0028 00021740
	s_nop 1                                                    // 00000001E308: BF800001
	v_max_f32_e32 v15, v48, v11                                // 00000001E30C: 161E1730
	v_mul_f32_e32 v53, s64, v15                                // 00000001E310: 0A6A1E40
	v_fma_f32 v112, v112, s64, -v53                            // 00000001E314: D1CB0070 84D48170
	v_fma_f32 v113, v113, s64, -v53                            // 00000001E31C: D1CB0071 84D48171
	v_fma_f32 v114, v114, s64, -v53                            // 00000001E324: D1CB0072 84D48172
	v_fma_f32 v115, v115, s64, -v53                            // 00000001E32C: D1CB0073 84D48173
	v_fma_f32 v116, v116, s64, -v53                            // 00000001E334: D1CB0074 84D48174
	v_fma_f32 v117, v117, s64, -v53                            // 00000001E33C: D1CB0075 84D48175
	v_fma_f32 v118, v118, s64, -v53                            // 00000001E344: D1CB0076 84D48176
	v_fma_f32 v119, v119, s64, -v53                            // 00000001E34C: D1CB0077 84D48177
	v_fma_f32 v120, v120, s64, -v53                            // 00000001E354: D1CB0078 84D48178
	v_fma_f32 v121, v121, s64, -v53                            // 00000001E35C: D1CB0079 84D48179
	v_fma_f32 v122, v122, s64, -v53                            // 00000001E364: D1CB007A 84D4817A
	v_fma_f32 v123, v123, s64, -v53                            // 00000001E36C: D1CB007B 84D4817B
	v_fma_f32 v124, v124, s64, -v53                            // 00000001E374: D1CB007C 84D4817C
	v_fma_f32 v125, v125, s64, -v53                            // 00000001E37C: D1CB007D 84D4817D
	v_fma_f32 v126, v126, s64, -v53                            // 00000001E384: D1CB007E 84D4817E
	v_fma_f32 v127, v127, s64, -v53                            // 00000001E38C: D1CB007F 84D4817F
	buffer_load_dwordx4 a[68:71], v31, s[20:23], 0 offen       // 00000001E394: E05C1000 8085441F
	v_exp_f32_e32 v112, v112                                   // 00000001E39C: 7EE04170
	v_exp_f32_e32 v113, v113                                   // 00000001E3A0: 7EE24171
	v_exp_f32_e32 v114, v114                                   // 00000001E3A4: 7EE44172
	v_exp_f32_e32 v115, v115                                   // 00000001E3A8: 7EE64173
	v_exp_f32_e32 v116, v116                                   // 00000001E3AC: 7EE84174
	v_exp_f32_e32 v117, v117                                   // 00000001E3B0: 7EEA4175
	v_exp_f32_e32 v118, v118                                   // 00000001E3B4: 7EEC4176
	v_exp_f32_e32 v119, v119                                   // 00000001E3B8: 7EEE4177
	v_exp_f32_e32 v120, v120                                   // 00000001E3BC: 7EF04178
	v_exp_f32_e32 v121, v121                                   // 00000001E3C0: 7EF24179
	v_exp_f32_e32 v122, v122                                   // 00000001E3C4: 7EF4417A
	v_exp_f32_e32 v123, v123                                   // 00000001E3C8: 7EF6417B
	v_exp_f32_e32 v124, v124                                   // 00000001E3CC: 7EF8417C
	v_exp_f32_e32 v125, v125                                   // 00000001E3D0: 7EFA417D
	v_exp_f32_e32 v126, v126                                   // 00000001E3D4: 7EFC417E
	v_exp_f32_e32 v127, v127                                   // 00000001E3D8: 7EFE417F
	buffer_load_dwordx4 a[72:75], v32, s[20:23], 0 offen       // 00000001E3DC: E05C1000 80854820
	v_mul_f32_dpp v240, v252, v112 quad_perm:[0,0,0,0] row_mask:0xf bank_mask:0xf// 00000001E3E4: 0BE0E0FA FF0000FC
	v_mul_f32_dpp v241, v252, v113 quad_perm:[1,1,1,1] row_mask:0xf bank_mask:0xf// 00000001E3EC: 0BE2E2FA FF0055FC
	v_mul_f32_dpp v242, v252, v114 quad_perm:[2,2,2,2] row_mask:0xf bank_mask:0xf// 00000001E3F4: 0BE4E4FA FF00AAFC
	v_mul_f32_dpp v243, v252, v115 quad_perm:[3,3,3,3] row_mask:0xf bank_mask:0xf// 00000001E3FC: 0BE6E6FA FF00FFFC
	v_mul_f32_dpp v244, v253, v116 quad_perm:[0,0,0,0] row_mask:0xf bank_mask:0xf// 00000001E404: 0BE8E8FA FF0000FD
	v_mul_f32_dpp v245, v253, v117 quad_perm:[1,1,1,1] row_mask:0xf bank_mask:0xf// 00000001E40C: 0BEAEAFA FF0055FD
	v_mul_f32_dpp v246, v253, v118 quad_perm:[2,2,2,2] row_mask:0xf bank_mask:0xf// 00000001E414: 0BECECFA FF00AAFD
	v_mul_f32_dpp v247, v253, v119 quad_perm:[3,3,3,3] row_mask:0xf bank_mask:0xf// 00000001E41C: 0BEEEEFA FF00FFFD
	v_mul_f32_dpp v248, v254, v120 quad_perm:[0,0,0,0] row_mask:0xf bank_mask:0xf// 00000001E424: 0BF0F0FA FF0000FE
	v_mul_f32_dpp v249, v254, v121 quad_perm:[1,1,1,1] row_mask:0xf bank_mask:0xf// 00000001E42C: 0BF2F2FA FF0055FE
	v_mul_f32_dpp v250, v254, v122 quad_perm:[2,2,2,2] row_mask:0xf bank_mask:0xf// 00000001E434: 0BF4F4FA FF00AAFE
	v_mul_f32_dpp v251, v254, v123 quad_perm:[3,3,3,3] row_mask:0xf bank_mask:0xf// 00000001E43C: 0BF6F6FA FF00FFFE
	v_mul_f32_dpp v252, v255, v124 quad_perm:[0,0,0,0] row_mask:0xf bank_mask:0xf// 00000001E444: 0BF8F8FA FF0000FF
	v_mul_f32_dpp v253, v255, v125 quad_perm:[1,1,1,1] row_mask:0xf bank_mask:0xf// 00000001E44C: 0BFAFAFA FF0055FF
	v_mul_f32_dpp v254, v255, v126 quad_perm:[2,2,2,2] row_mask:0xf bank_mask:0xf// 00000001E454: 0BFCFCFA FF00AAFF
	v_mul_f32_dpp v255, v255, v127 quad_perm:[3,3,3,3] row_mask:0xf bank_mask:0xf// 00000001E45C: 0BFEFEFA FF00FFFF
	v_mov_b32_e32 v48, 0x358637bd                              // 00000001E464: 7E6002FF 358637BD
	v_max3_f32 v48, |v240|, |v241|, v48                        // 00000001E46C: D1D30330 04C3E3F0
	v_max3_f32 v48, |v242|, |v243|, v48                        // 00000001E474: D1D30330 04C3E7F2
	v_max3_f32 v48, |v244|, |v245|, v48                        // 00000001E47C: D1D30330 04C3EBF4
	v_max3_f32 v48, |v246|, |v247|, v48                        // 00000001E484: D1D30330 04C3EFF6
	v_max3_f32 v48, |v248|, |v249|, v48                        // 00000001E48C: D1D30330 04C3F3F8
	v_max3_f32 v48, |v250|, |v251|, v48                        // 00000001E494: D1D30330 04C3F7FA
	v_max3_f32 v48, |v252|, |v253|, v48                        // 00000001E49C: D1D30330 04C3FBFC
	v_max3_f32 v48, |v254|, |v255|, v48                        // 00000001E4A4: D1D30330 04C3FFFE
	buffer_load_dwordx4 a[76:79], v33, s[20:23], 0 offen       // 00000001E4AC: E05C1000 80854C21
	ds_write_b32 v8, v48 offset:20992                          // 00000001E4B4: D81A5200 00003008
	v_sub_f32_e32 v49, v11, v15                                // 00000001E4BC: 04621F0B
	v_cndmask_b32_e64 v49, v49, 0, s[40:41]                    // 00000001E4C0: D1000031 00A10131
	v_mov_b32_e32 v11, v15                                     // 00000001E4C8: 7E16030F
	v_mul_f32_e32 v49, s64, v49                                // 00000001E4CC: 0A626240
	v_exp_f32_e32 v49, v49                                     // 00000001E4D0: 7E624131
	s_waitcnt lgkmcnt(0)                                       // 00000001E4D4: BF8CC07F
	s_barrier                                                  // 00000001E4D8: BF8A0000
	ds_read_b32 v64, v7 offset:20992                           // 00000001E4DC: D86C5200 40000007
	ds_read_b32 v65, v7 offset:21056                           // 00000001E4E4: D86C5240 41000007
	ds_read_b32 v66, v7 offset:21120                           // 00000001E4EC: D86C5280 42000007
	ds_read_b32 v67, v7 offset:21184                           // 00000001E4F4: D86C52C0 43000007
	ds_read_b32 v68, v7 offset:21248                           // 00000001E4FC: D86C5300 44000007
	ds_read_b32 v69, v7 offset:21312                           // 00000001E504: D86C5340 45000007
	ds_read_b32 v70, v7 offset:21376                           // 00000001E50C: D86C5380 46000007
	ds_read_b32 v71, v7 offset:21440                           // 00000001E514: D86C53C0 47000007
	ds_read_b32 v72, v7 offset:21504                           // 00000001E51C: D86C5400 48000007
	ds_read_b32 v73, v7 offset:21568                           // 00000001E524: D86C5440 49000007
	ds_read_b32 v74, v7 offset:21632                           // 00000001E52C: D86C5480 4A000007
	ds_read_b32 v75, v7 offset:21696                           // 00000001E534: D86C54C0 4B000007
	ds_read_b32 v76, v7 offset:21760                           // 00000001E53C: D86C5500 4C000007
	ds_read_b32 v77, v7 offset:21824                           // 00000001E544: D86C5540 4D000007
	ds_read_b32 v78, v7 offset:21888                           // 00000001E54C: D86C5580 4E000007
	ds_read_b32 v79, v7 offset:21952                           // 00000001E554: D86C55C0 4F000007
	v_mul_f32_e32 v38, v49, v38                                // 00000001E55C: 0A4C4D31
	v_mov_b32_e32 v15, v112                                    // 00000001E560: 7E1E0370
	v_add_f32_e32 v15, v113, v15                               // 00000001E564: 021E1F71
	v_add_f32_e32 v15, v114, v15                               // 00000001E568: 021E1F72
	v_add_f32_e32 v15, v115, v15                               // 00000001E56C: 021E1F73
	v_add_f32_e32 v15, v116, v15                               // 00000001E570: 021E1F74
	v_add_f32_e32 v15, v117, v15                               // 00000001E574: 021E1F75
	v_add_f32_e32 v15, v118, v15                               // 00000001E578: 021E1F76
	v_add_f32_e32 v15, v119, v15                               // 00000001E57C: 021E1F77
	v_add_f32_e32 v15, v120, v15                               // 00000001E580: 021E1F78
	v_add_f32_e32 v15, v121, v15                               // 00000001E584: 021E1F79
	v_add_f32_e32 v15, v122, v15                               // 00000001E588: 021E1F7A
	v_add_f32_e32 v15, v123, v15                               // 00000001E58C: 021E1F7B
	v_add_f32_e32 v15, v124, v15                               // 00000001E590: 021E1F7C
	v_add_f32_e32 v15, v125, v15                               // 00000001E594: 021E1F7D
	v_add_f32_e32 v15, v126, v15                               // 00000001E598: 021E1F7E
	v_add_f32_e32 v15, v127, v15                               // 00000001E59C: 021E1F7F
	v_add_f32_e32 v38, v15, v38                                // 00000001E5A0: 024C4D0F
	s_waitcnt lgkmcnt(0)                                       // 00000001E5A4: BF8CC07F
	v_max3_f32 v48, |v64|, |v65|, v48                          // 00000001E5A8: D1D30330 04C28340
	v_max3_f32 v48, |v66|, |v67|, v48                          // 00000001E5B0: D1D30330 04C28742
	v_max3_f32 v48, |v68|, |v69|, v48                          // 00000001E5B8: D1D30330 04C28B44
	v_max3_f32 v48, |v70|, |v71|, v48                          // 00000001E5C0: D1D30330 04C28F46
	v_max3_f32 v48, |v72|, |v73|, v48                          // 00000001E5C8: D1D30330 04C29348
	v_max3_f32 v48, |v74|, |v75|, v48                          // 00000001E5D0: D1D30330 04C2974A
	v_max3_f32 v48, |v76|, |v77|, v48                          // 00000001E5D8: D1D30330 04C29B4C
	v_max3_f32 v48, |v78|, |v79|, v48                          // 00000001E5E0: D1D30330 04C29F4E
	s_nop 2                                                    // 00000001E5E8: BF800002
	v_rcp_f32_e32 v48, v48                                     // 00000001E5EC: 7E604530
	s_nop 1                                                    // 00000001E5F0: BF800001
	v_mul_f32_e32 v48, 0x42fe0000, v48                         // 00000001E5F4: 0A6060FF 42FE0000
	v_mul_f32_e32 v112, v48, v240                              // 00000001E5FC: 0AE1E130
	v_mul_f32_e32 v113, v48, v241                              // 00000001E600: 0AE3E330
	v_mul_f32_e32 v114, v48, v242                              // 00000001E604: 0AE5E530
	v_mul_f32_e32 v115, v48, v243                              // 00000001E608: 0AE7E730
	v_mul_f32_e32 v116, v48, v244                              // 00000001E60C: 0AE9E930
	v_mul_f32_e32 v117, v48, v245                              // 00000001E610: 0AEBEB30
	v_mul_f32_e32 v118, v48, v246                              // 00000001E614: 0AEDED30
	v_mul_f32_e32 v119, v48, v247                              // 00000001E618: 0AEFEF30
	v_mul_f32_e32 v120, v48, v248                              // 00000001E61C: 0AF1F130
	v_mul_f32_e32 v121, v48, v249                              // 00000001E620: 0AF3F330
	v_mul_f32_e32 v122, v48, v250                              // 00000001E624: 0AF5F530
	v_mul_f32_e32 v123, v48, v251                              // 00000001E628: 0AF7F730
	v_mul_f32_e32 v124, v48, v252                              // 00000001E62C: 0AF9F930
	v_mul_f32_e32 v125, v48, v253                              // 00000001E630: 0AFBFB30
	v_mul_f32_e32 v126, v48, v254                              // 00000001E634: 0AFDFD30
	v_mul_f32_e32 v127, v48, v255                              // 00000001E638: 0AFFFF30
	v_cvt_i32_f32_e32 v112, v112                               // 00000001E63C: 7EE01170
	v_cvt_i32_f32_e32 v113, v113                               // 00000001E640: 7EE21171
	v_cvt_i32_f32_e32 v114, v114                               // 00000001E644: 7EE41172
	v_cvt_i32_f32_e32 v115, v115                               // 00000001E648: 7EE61173
	v_cvt_i32_f32_e32 v116, v116                               // 00000001E64C: 7EE81174
	v_cvt_i32_f32_e32 v117, v117                               // 00000001E650: 7EEA1175
	v_cvt_i32_f32_e32 v118, v118                               // 00000001E654: 7EEC1176
	v_cvt_i32_f32_e32 v119, v119                               // 00000001E658: 7EEE1177
	v_cvt_i32_f32_e32 v120, v120                               // 00000001E65C: 7EF01178
	v_cvt_i32_f32_e32 v121, v121                               // 00000001E660: 7EF21179
	v_cvt_i32_f32_e32 v122, v122                               // 00000001E664: 7EF4117A
	v_cvt_i32_f32_e32 v123, v123                               // 00000001E668: 7EF6117B
	v_cvt_i32_f32_e32 v124, v124                               // 00000001E66C: 7EF8117C
	v_cvt_i32_f32_e32 v125, v125                               // 00000001E670: 7EFA117D
	v_cvt_i32_f32_e32 v126, v126                               // 00000001E674: 7EFC117E
	v_cvt_i32_f32_e32 v127, v127                               // 00000001E678: 7EFE117F
	v_perm_b32 v112, v113, v112, s53                           // 00000001E67C: D1ED0070 00D6E171
	v_perm_b32 v112, v114, v112, s54                           // 00000001E684: D1ED0070 00DAE172
	v_perm_b32 v112, v115, v112, s55                           // 00000001E68C: D1ED0070 00DEE173
	v_perm_b32 v113, v117, v116, s53                           // 00000001E694: D1ED0071 00D6E975
	v_perm_b32 v113, v118, v113, s54                           // 00000001E69C: D1ED0071 00DAE376
	v_perm_b32 v113, v119, v113, s55                           // 00000001E6A4: D1ED0071 00DEE377
	v_perm_b32 v114, v121, v120, s53                           // 00000001E6AC: D1ED0072 00D6F179
	v_perm_b32 v114, v122, v114, s54                           // 00000001E6B4: D1ED0072 00DAE57A
	v_perm_b32 v114, v123, v114, s55                           // 00000001E6BC: D1ED0072 00DEE57B
	v_perm_b32 v115, v125, v124, s53                           // 00000001E6C4: D1ED0073 00D6F97D
	v_perm_b32 v115, v126, v115, s54                           // 00000001E6CC: D1ED0073 00DAE77E
	v_perm_b32 v115, v127, v115, s55                           // 00000001E6D4: D1ED0073 00DEE77F
	ds_write_b32 v10, v112 offset:25088                        // 00000001E6DC: D81A6200 0000700A
	ds_write_b32 v10, v113 offset:26112                        // 00000001E6E4: D81A6600 0000710A
	ds_write_b32 v10, v114 offset:27136                        // 00000001E6EC: D81A6A00 0000720A
	ds_write_b32 v10, v115 offset:28160                        // 00000001E6F4: D81A6E00 0000730A
	v_add_f32_e32 v208, v208, v176                             // 00000001E6FC: 03A161D0
	v_add_f32_e32 v209, v209, v177                             // 00000001E700: 03A363D1
	v_add_f32_e32 v210, v210, v178                             // 00000001E704: 03A565D2
	v_add_f32_e32 v211, v211, v179                             // 00000001E708: 03A767D3
	v_add_f32_e32 v212, v212, v180                             // 00000001E70C: 03A969D4
	v_add_f32_e32 v213, v213, v181                             // 00000001E710: 03AB6BD5
	v_add_f32_e32 v214, v214, v182                             // 00000001E714: 03AD6DD6
	v_add_f32_e32 v215, v215, v183                             // 00000001E718: 03AF6FD7
	v_rcp_f32_e32 v44, v48                                     // 00000001E71C: 7E584530
	s_waitcnt lgkmcnt(0)                                       // 00000001E720: BF8CC07F
	s_barrier                                                  // 00000001E724: BF8A0000
	ds_read_b64 v[112:113], v9 offset:25088                    // 00000001E728: D8EC6200 70000009
	ds_read_b64 v[114:115], v9 offset:25216                    // 00000001E730: D8EC6280 72000009
	ds_read_b64 v[116:117], v9 offset:26112                    // 00000001E738: D8EC6600 74000009
	ds_read_b64 v[118:119], v9 offset:26240                    // 00000001E740: D8EC6680 76000009
	ds_read_b64 v[120:121], v9 offset:27136                    // 00000001E748: D8EC6A00 78000009
	ds_read_b64 v[122:123], v9 offset:27264                    // 00000001E750: D8EC6A80 7A000009
	ds_read_b64 v[124:125], v9 offset:28160                    // 00000001E758: D8EC6E00 7C000009
	ds_read_b64 v[126:127], v9 offset:28288                    // 00000001E760: D8EC6E80 7E000009
	v_mov_b32_dpp v64, v43 row_shr:4 row_mask:0xf bank_mask:0xf// 00000001E768: 7E8002FA FF01142B
	v_mov_b32_dpp v65, v43 row_shl:4 row_mask:0xf bank_mask:0xf// 00000001E770: 7E8202FA FF01042B
	v_cndmask_b32_e64 v248, v43, v64, s[44:45]                 // 00000001E778: D10000F8 00B2812B
	v_cndmask_b32_e64 v249, v65, v43, s[44:45]                 // 00000001E780: D10000F9 00B25741
	v_mov_b32_dpp v64, v248 row_shr:8 row_mask:0xf bank_mask:0xf// 00000001E788: 7E8002FA FF0118F8
	v_mov_b32_dpp v65, v248 row_shl:8 row_mask:0xf bank_mask:0xf// 00000001E790: 7E8202FA FF0108F8
	v_mov_b32_dpp v66, v249 row_shr:8 row_mask:0xf bank_mask:0xf// 00000001E798: 7E8402FA FF0118F9
	v_mov_b32_dpp v67, v249 row_shl:8 row_mask:0xf bank_mask:0xf// 00000001E7A0: 7E8602FA FF0108F9
	v_mov_b32_e32 v68, v248                                    // 00000001E7A8: 7E8803F8
	v_mov_b32_e32 v69, v249                                    // 00000001E7AC: 7E8A03F9
	v_cndmask_b32_e64 v248, v68, v64, s[42:43]                 // 00000001E7B0: D10000F8 00AA8144
	v_cndmask_b32_e64 v250, v68, v65, s[78:79]                 // 00000001E7B8: D10000FA 013A8344
	v_cndmask_b32_e64 v249, v69, v66, s[42:43]                 // 00000001E7C0: D10000F9 00AA8545
	v_cndmask_b32_e64 v251, v69, v67, s[78:79]                 // 00000001E7C8: D10000FB 013A8745
	v_mov_b32_dpp v64, v58 row_shr:4 row_mask:0xf bank_mask:0xf// 00000001E7D0: 7E8002FA FF01143A
	v_mov_b32_dpp v65, v58 row_shl:4 row_mask:0xf bank_mask:0xf// 00000001E7D8: 7E8202FA FF01043A
	v_cndmask_b32_e64 v252, v58, v64, s[44:45]                 // 00000001E7E0: D10000FC 00B2813A
	v_cndmask_b32_e64 v253, v65, v58, s[44:45]                 // 00000001E7E8: D10000FD 00B27541
	v_mov_b32_dpp v64, v252 row_shr:8 row_mask:0xf bank_mask:0xf// 00000001E7F0: 7E8002FA FF0118FC
	v_mov_b32_dpp v65, v252 row_shl:8 row_mask:0xf bank_mask:0xf// 00000001E7F8: 7E8202FA FF0108FC
	v_mov_b32_dpp v66, v253 row_shr:8 row_mask:0xf bank_mask:0xf// 00000001E800: 7E8402FA FF0118FD
	v_mov_b32_dpp v67, v253 row_shl:8 row_mask:0xf bank_mask:0xf// 00000001E808: 7E8602FA FF0108FD
	v_mov_b32_e32 v68, v252                                    // 00000001E810: 7E8803FC
	v_mov_b32_e32 v69, v253                                    // 00000001E814: 7E8A03FD
	v_cndmask_b32_e64 v252, v68, v64, s[42:43]                 // 00000001E818: D10000FC 00AA8144
	v_cndmask_b32_e64 v254, v68, v65, s[78:79]                 // 00000001E820: D10000FE 013A8344
	v_cndmask_b32_e64 v253, v69, v66, s[42:43]                 // 00000001E828: D10000FD 00AA8545
	v_cndmask_b32_e64 v255, v69, v67, s[78:79]                 // 00000001E830: D10000FF 013A8745
	v_cvt_f32_i32_e32 v128, v128                               // 00000001E838: 7F000B80
	v_cvt_f32_i32_e32 v129, v129                               // 00000001E83C: 7F020B81
	v_cvt_f32_i32_e32 v130, v130                               // 00000001E840: 7F040B82
	v_cvt_f32_i32_e32 v131, v131                               // 00000001E844: 7F060B83
	v_cvt_f32_i32_e32 v132, v132                               // 00000001E848: 7F080B84
	v_cvt_f32_i32_e32 v133, v133                               // 00000001E84C: 7F0A0B85
	v_cvt_f32_i32_e32 v134, v134                               // 00000001E850: 7F0C0B86
	v_cvt_f32_i32_e32 v135, v135                               // 00000001E854: 7F0E0B87
	v_cvt_f32_i32_e32 v136, v136                               // 00000001E858: 7F100B88
	v_cvt_f32_i32_e32 v137, v137                               // 00000001E85C: 7F120B89
	v_cvt_f32_i32_e32 v138, v138                               // 00000001E860: 7F140B8A
	v_cvt_f32_i32_e32 v139, v139                               // 00000001E864: 7F160B8B
	v_cvt_f32_i32_e32 v140, v140                               // 00000001E868: 7F180B8C
	v_cvt_f32_i32_e32 v141, v141                               // 00000001E86C: 7F1A0B8D
	v_cvt_f32_i32_e32 v142, v142                               // 00000001E870: 7F1C0B8E
	v_cvt_f32_i32_e32 v143, v143                               // 00000001E874: 7F1E0B8F
	v_mul_f32_e32 v128, v19, v128                              // 00000001E878: 0B010113
	v_mul_f32_e32 v129, v19, v129                              // 00000001E87C: 0B030313
	v_mul_f32_e32 v130, v19, v130                              // 00000001E880: 0B050513
	v_mul_f32_e32 v131, v19, v131                              // 00000001E884: 0B070713
	v_mul_f32_e32 v132, v19, v132                              // 00000001E888: 0B090913
	v_mul_f32_e32 v133, v19, v133                              // 00000001E88C: 0B0B0B13
	v_mul_f32_e32 v134, v19, v134                              // 00000001E890: 0B0D0D13
	v_mul_f32_e32 v135, v19, v135                              // 00000001E894: 0B0F0F13
	v_mul_f32_e32 v136, v19, v136                              // 00000001E898: 0B111113
	v_mul_f32_e32 v137, v19, v137                              // 00000001E89C: 0B131313
	v_mul_f32_e32 v138, v19, v138                              // 00000001E8A0: 0B151513
	v_mul_f32_e32 v139, v19, v139                              // 00000001E8A4: 0B171713
	v_mul_f32_e32 v140, v19, v140                              // 00000001E8A8: 0B191913
	v_mul_f32_e32 v141, v19, v141                              // 00000001E8AC: 0B1B1B13
	v_mul_f32_e32 v142, v19, v142                              // 00000001E8B0: 0B1D1D13
	v_mul_f32_e32 v143, v19, v143                              // 00000001E8B4: 0B1F1F13
	v_mul_f32_dpp v128, v248, v128 quad_perm:[0,0,0,0] row_mask:0xf bank_mask:0xf// 00000001E8B8: 0B0100FA FF0000F8
	v_mul_f32_dpp v129, v248, v129 quad_perm:[1,1,1,1] row_mask:0xf bank_mask:0xf// 00000001E8C0: 0B0302FA FF0055F8
	v_mul_f32_dpp v130, v248, v130 quad_perm:[2,2,2,2] row_mask:0xf bank_mask:0xf// 00000001E8C8: 0B0504FA FF00AAF8
	v_mul_f32_dpp v131, v248, v131 quad_perm:[3,3,3,3] row_mask:0xf bank_mask:0xf// 00000001E8D0: 0B0706FA FF00FFF8
	v_mul_f32_dpp v132, v249, v132 quad_perm:[0,0,0,0] row_mask:0xf bank_mask:0xf// 00000001E8D8: 0B0908FA FF0000F9
	v_mul_f32_dpp v133, v249, v133 quad_perm:[1,1,1,1] row_mask:0xf bank_mask:0xf// 00000001E8E0: 0B0B0AFA FF0055F9
	v_mul_f32_dpp v134, v249, v134 quad_perm:[2,2,2,2] row_mask:0xf bank_mask:0xf// 00000001E8E8: 0B0D0CFA FF00AAF9
	v_mul_f32_dpp v135, v249, v135 quad_perm:[3,3,3,3] row_mask:0xf bank_mask:0xf// 00000001E8F0: 0B0F0EFA FF00FFF9
	v_mul_f32_dpp v136, v250, v136 quad_perm:[0,0,0,0] row_mask:0xf bank_mask:0xf// 00000001E8F8: 0B1110FA FF0000FA
	v_mul_f32_dpp v137, v250, v137 quad_perm:[1,1,1,1] row_mask:0xf bank_mask:0xf// 00000001E900: 0B1312FA FF0055FA
	v_mul_f32_dpp v138, v250, v138 quad_perm:[2,2,2,2] row_mask:0xf bank_mask:0xf// 00000001E908: 0B1514FA FF00AAFA
	v_mul_f32_dpp v139, v250, v139 quad_perm:[3,3,3,3] row_mask:0xf bank_mask:0xf// 00000001E910: 0B1716FA FF00FFFA
	v_mul_f32_dpp v140, v251, v140 quad_perm:[0,0,0,0] row_mask:0xf bank_mask:0xf// 00000001E918: 0B1918FA FF0000FB
	v_mul_f32_dpp v141, v251, v141 quad_perm:[1,1,1,1] row_mask:0xf bank_mask:0xf// 00000001E920: 0B1B1AFA FF0055FB
	v_mul_f32_dpp v142, v251, v142 quad_perm:[2,2,2,2] row_mask:0xf bank_mask:0xf// 00000001E928: 0B1D1CFA FF00AAFB
	v_mul_f32_dpp v143, v251, v143 quad_perm:[3,3,3,3] row_mask:0xf bank_mask:0xf// 00000001E930: 0B1F1EFA FF00FFFB
	v_mov_b32_e32 v48, v128                                    // 00000001E938: 7E600380
	v_max3_f32 v48, v128, v129, v48                            // 00000001E93C: D1D30030 04C30380
	v_max3_f32 v48, v130, v131, v48                            // 00000001E944: D1D30030 04C30782
	v_max3_f32 v48, v132, v133, v48                            // 00000001E94C: D1D30030 04C30B84
	v_max3_f32 v48, v134, v135, v48                            // 00000001E954: D1D30030 04C30F86
	v_max3_f32 v48, v136, v137, v48                            // 00000001E95C: D1D30030 04C31388
	v_max3_f32 v48, v138, v139, v48                            // 00000001E964: D1D30030 04C3178A
	v_max3_f32 v48, v140, v141, v48                            // 00000001E96C: D1D30030 04C31B8C
	v_max3_f32 v48, v142, v143, v48                            // 00000001E974: D1D30030 04C31F8E
	ds_write_b32 v8, v48 offset:16896                          // 00000001E97C: D81A4200 00003008
	v_mul_f32_e32 v216, v50, v216                              // 00000001E984: 0BB1B132
	v_mul_f32_e32 v217, v50, v217                              // 00000001E988: 0BB3B332
	v_mul_f32_e32 v218, v50, v218                              // 00000001E98C: 0BB5B532
	v_mul_f32_e32 v219, v50, v219                              // 00000001E990: 0BB7B732
	v_mul_f32_e32 v220, v50, v220                              // 00000001E994: 0BB9B932
	v_mul_f32_e32 v221, v50, v221                              // 00000001E998: 0BBBBB32
	v_mul_f32_e32 v222, v50, v222                              // 00000001E99C: 0BBDBD32
	v_mul_f32_e32 v223, v50, v223                              // 00000001E9A0: 0BBFBF32
	s_waitcnt lgkmcnt(0)                                       // 00000001E9A4: BF8CC07F
	s_barrier                                                  // 00000001E9A8: BF8A0000
	ds_read_b32 v64, v7 offset:16896                           // 00000001E9AC: D86C4200 40000007
	ds_read_b32 v65, v7 offset:16960                           // 00000001E9B4: D86C4240 41000007
	ds_read_b32 v66, v7 offset:17024                           // 00000001E9BC: D86C4280 42000007
	ds_read_b32 v67, v7 offset:17088                           // 00000001E9C4: D86C42C0 43000007
	ds_read_b32 v68, v7 offset:17152                           // 00000001E9CC: D86C4300 44000007
	ds_read_b32 v69, v7 offset:17216                           // 00000001E9D4: D86C4340 45000007
	ds_read_b32 v70, v7 offset:17280                           // 00000001E9DC: D86C4380 46000007
	ds_read_b32 v71, v7 offset:17344                           // 00000001E9E4: D86C43C0 47000007
	ds_read_b32 v72, v7 offset:17408                           // 00000001E9EC: D86C4400 48000007
	ds_read_b32 v73, v7 offset:17472                           // 00000001E9F4: D86C4440 49000007
	ds_read_b32 v74, v7 offset:17536                           // 00000001E9FC: D86C4480 4A000007
	ds_read_b32 v75, v7 offset:17600                           // 00000001EA04: D86C44C0 4B000007
	ds_read_b32 v76, v7 offset:17664                           // 00000001EA0C: D86C4500 4C000007
	ds_read_b32 v77, v7 offset:17728                           // 00000001EA14: D86C4540 4D000007
	ds_read_b32 v78, v7 offset:17792                           // 00000001EA1C: D86C4580 4E000007
	ds_read_b32 v79, v7 offset:17856                           // 00000001EA24: D86C45C0 4F000007
	v_cvt_f32_i32_e32 v184, v184                               // 00000001EA2C: 7F700BB8
	v_cvt_f32_i32_e32 v185, v185                               // 00000001EA30: 7F720BB9
	v_cvt_f32_i32_e32 v186, v186                               // 00000001EA34: 7F740BBA
	v_cvt_f32_i32_e32 v187, v187                               // 00000001EA38: 7F760BBB
	v_cvt_f32_i32_e32 v188, v188                               // 00000001EA3C: 7F780BBC
	v_cvt_f32_i32_e32 v189, v189                               // 00000001EA40: 7F7A0BBD
	v_cvt_f32_i32_e32 v190, v190                               // 00000001EA44: 7F7C0BBE
	v_cvt_f32_i32_e32 v191, v191                               // 00000001EA48: 7F7E0BBF
	v_mul_f32_e32 v184, v45, v184                              // 00000001EA4C: 0B71712D
	v_mul_f32_e32 v185, v45, v185                              // 00000001EA50: 0B73732D
	v_mul_f32_e32 v186, v45, v186                              // 00000001EA54: 0B75752D
	v_mul_f32_e32 v187, v45, v187                              // 00000001EA58: 0B77772D
	v_mul_f32_e32 v188, v45, v188                              // 00000001EA5C: 0B79792D
	v_mul_f32_e32 v189, v45, v189                              // 00000001EA60: 0B7B7B2D
	v_mul_f32_e32 v190, v45, v190                              // 00000001EA64: 0B7D7D2D
	v_mul_f32_e32 v191, v45, v191                              // 00000001EA68: 0B7F7F2D
	s_waitcnt lgkmcnt(0)                                       // 00000001EA6C: BF8CC07F
	v_max3_f32 v48, v64, v65, v48                              // 00000001EA70: D1D30030 04C28340
	v_max3_f32 v48, v66, v67, v48                              // 00000001EA78: D1D30030 04C28742
	v_max3_f32 v48, v68, v69, v48                              // 00000001EA80: D1D30030 04C28B44
	v_max3_f32 v48, v70, v71, v48                              // 00000001EA88: D1D30030 04C28F46
	v_max3_f32 v48, v72, v73, v48                              // 00000001EA90: D1D30030 04C29348
	v_max3_f32 v48, v74, v75, v48                              // 00000001EA98: D1D30030 04C2974A
	v_max3_f32 v48, v76, v77, v48                              // 00000001EAA0: D1D30030 04C29B4C
	v_max3_f32 v48, v78, v79, v48                              // 00000001EAA8: D1D30030 04C29F4E
	v_mov_b32_e32 v64, 0xff800000                              // 00000001EAB0: 7E8002FF FF800000
	v_cmp_eq_u32_e64 s[40:41], v64, v12                        // 00000001EAB8: D0CA0028 00021940
	s_nop 1                                                    // 00000001EAC0: BF800001
	v_max_f32_e32 v15, v48, v12                                // 00000001EAC4: 161E1930
	v_mul_f32_e32 v53, s64, v15                                // 00000001EAC8: 0A6A1E40
	v_fma_f32 v128, v128, s64, -v53                            // 00000001EACC: D1CB0080 84D48180
	v_fma_f32 v129, v129, s64, -v53                            // 00000001EAD4: D1CB0081 84D48181
	v_fma_f32 v130, v130, s64, -v53                            // 00000001EADC: D1CB0082 84D48182
	v_fma_f32 v131, v131, s64, -v53                            // 00000001EAE4: D1CB0083 84D48183
	v_fma_f32 v132, v132, s64, -v53                            // 00000001EAEC: D1CB0084 84D48184
	v_fma_f32 v133, v133, s64, -v53                            // 00000001EAF4: D1CB0085 84D48185
	v_fma_f32 v134, v134, s64, -v53                            // 00000001EAFC: D1CB0086 84D48186
	v_fma_f32 v135, v135, s64, -v53                            // 00000001EB04: D1CB0087 84D48187
	v_fma_f32 v136, v136, s64, -v53                            // 00000001EB0C: D1CB0088 84D48188
	v_fma_f32 v137, v137, s64, -v53                            // 00000001EB14: D1CB0089 84D48189
	v_fma_f32 v138, v138, s64, -v53                            // 00000001EB1C: D1CB008A 84D4818A
	v_fma_f32 v139, v139, s64, -v53                            // 00000001EB24: D1CB008B 84D4818B
	v_fma_f32 v140, v140, s64, -v53                            // 00000001EB2C: D1CB008C 84D4818C
	v_fma_f32 v141, v141, s64, -v53                            // 00000001EB34: D1CB008D 84D4818D
	v_fma_f32 v142, v142, s64, -v53                            // 00000001EB3C: D1CB008E 84D4818E
	v_fma_f32 v143, v143, s64, -v53                            // 00000001EB44: D1CB008F 84D4818F
	v_exp_f32_e32 v128, v128                                   // 00000001EB4C: 7F004180
	v_exp_f32_e32 v129, v129                                   // 00000001EB50: 7F024181
	v_exp_f32_e32 v130, v130                                   // 00000001EB54: 7F044182
	v_exp_f32_e32 v131, v131                                   // 00000001EB58: 7F064183
	v_exp_f32_e32 v132, v132                                   // 00000001EB5C: 7F084184
	v_exp_f32_e32 v133, v133                                   // 00000001EB60: 7F0A4185
	v_exp_f32_e32 v134, v134                                   // 00000001EB64: 7F0C4186
	v_exp_f32_e32 v135, v135                                   // 00000001EB68: 7F0E4187
	v_exp_f32_e32 v136, v136                                   // 00000001EB6C: 7F104188
	v_exp_f32_e32 v137, v137                                   // 00000001EB70: 7F124189
	v_exp_f32_e32 v138, v138                                   // 00000001EB74: 7F14418A
	v_exp_f32_e32 v139, v139                                   // 00000001EB78: 7F16418B
	v_exp_f32_e32 v140, v140                                   // 00000001EB7C: 7F18418C
	v_exp_f32_e32 v141, v141                                   // 00000001EB80: 7F1A418D
	v_exp_f32_e32 v142, v142                                   // 00000001EB84: 7F1C418E
	v_exp_f32_e32 v143, v143                                   // 00000001EB88: 7F1E418F
	v_mul_f32_dpp v240, v252, v128 quad_perm:[0,0,0,0] row_mask:0xf bank_mask:0xf// 00000001EB8C: 0BE100FA FF0000FC
	v_mul_f32_dpp v241, v252, v129 quad_perm:[1,1,1,1] row_mask:0xf bank_mask:0xf// 00000001EB94: 0BE302FA FF0055FC
	v_mul_f32_dpp v242, v252, v130 quad_perm:[2,2,2,2] row_mask:0xf bank_mask:0xf// 00000001EB9C: 0BE504FA FF00AAFC
	v_mul_f32_dpp v243, v252, v131 quad_perm:[3,3,3,3] row_mask:0xf bank_mask:0xf// 00000001EBA4: 0BE706FA FF00FFFC
	v_mul_f32_dpp v244, v253, v132 quad_perm:[0,0,0,0] row_mask:0xf bank_mask:0xf// 00000001EBAC: 0BE908FA FF0000FD
	v_mul_f32_dpp v245, v253, v133 quad_perm:[1,1,1,1] row_mask:0xf bank_mask:0xf// 00000001EBB4: 0BEB0AFA FF0055FD
	v_mul_f32_dpp v246, v253, v134 quad_perm:[2,2,2,2] row_mask:0xf bank_mask:0xf// 00000001EBBC: 0BED0CFA FF00AAFD
	v_mul_f32_dpp v247, v253, v135 quad_perm:[3,3,3,3] row_mask:0xf bank_mask:0xf// 00000001EBC4: 0BEF0EFA FF00FFFD
	v_mul_f32_dpp v248, v254, v136 quad_perm:[0,0,0,0] row_mask:0xf bank_mask:0xf// 00000001EBCC: 0BF110FA FF0000FE
	v_mul_f32_dpp v249, v254, v137 quad_perm:[1,1,1,1] row_mask:0xf bank_mask:0xf// 00000001EBD4: 0BF312FA FF0055FE
	v_mul_f32_dpp v250, v254, v138 quad_perm:[2,2,2,2] row_mask:0xf bank_mask:0xf// 00000001EBDC: 0BF514FA FF00AAFE
	v_mul_f32_dpp v251, v254, v139 quad_perm:[3,3,3,3] row_mask:0xf bank_mask:0xf// 00000001EBE4: 0BF716FA FF00FFFE
	v_mul_f32_dpp v252, v255, v140 quad_perm:[0,0,0,0] row_mask:0xf bank_mask:0xf// 00000001EBEC: 0BF918FA FF0000FF
	v_mul_f32_dpp v253, v255, v141 quad_perm:[1,1,1,1] row_mask:0xf bank_mask:0xf// 00000001EBF4: 0BFB1AFA FF0055FF
	v_mul_f32_dpp v254, v255, v142 quad_perm:[2,2,2,2] row_mask:0xf bank_mask:0xf// 00000001EBFC: 0BFD1CFA FF00AAFF
	v_mul_f32_dpp v255, v255, v143 quad_perm:[3,3,3,3] row_mask:0xf bank_mask:0xf// 00000001EC04: 0BFF1EFA FF00FFFF
	v_mov_b32_e32 v48, 0x358637bd                              // 00000001EC0C: 7E6002FF 358637BD
	v_max3_f32 v48, |v240|, |v241|, v48                        // 00000001EC14: D1D30330 04C3E3F0
	v_max3_f32 v48, |v242|, |v243|, v48                        // 00000001EC1C: D1D30330 04C3E7F2
	v_max3_f32 v48, |v244|, |v245|, v48                        // 00000001EC24: D1D30330 04C3EBF4
	v_max3_f32 v48, |v246|, |v247|, v48                        // 00000001EC2C: D1D30330 04C3EFF6
	v_max3_f32 v48, |v248|, |v249|, v48                        // 00000001EC34: D1D30330 04C3F3F8
	v_max3_f32 v48, |v250|, |v251|, v48                        // 00000001EC3C: D1D30330 04C3F7FA
	v_max3_f32 v48, |v252|, |v253|, v48                        // 00000001EC44: D1D30330 04C3FBFC
	v_max3_f32 v48, |v254|, |v255|, v48                        // 00000001EC4C: D1D30330 04C3FFFE
	ds_write_b32 v8, v48 offset:20992                          // 00000001EC54: D81A5200 00003008
	v_sub_f32_e32 v50, v12, v15                                // 00000001EC5C: 04641F0C
	v_cndmask_b32_e64 v50, v50, 0, s[40:41]                    // 00000001EC60: D1000032 00A10132
	v_mov_b32_e32 v12, v15                                     // 00000001EC68: 7E18030F
	v_mul_f32_e32 v50, s64, v50                                // 00000001EC6C: 0A646440
	v_exp_f32_e32 v50, v50                                     // 00000001EC70: 7E644132
	s_waitcnt lgkmcnt(0)                                       // 00000001EC74: BF8CC07F
	s_barrier                                                  // 00000001EC78: BF8A0000
	ds_read_b32 v64, v7 offset:20992                           // 00000001EC7C: D86C5200 40000007
	ds_read_b32 v65, v7 offset:21056                           // 00000001EC84: D86C5240 41000007
	ds_read_b32 v66, v7 offset:21120                           // 00000001EC8C: D86C5280 42000007
	ds_read_b32 v67, v7 offset:21184                           // 00000001EC94: D86C52C0 43000007
	ds_read_b32 v68, v7 offset:21248                           // 00000001EC9C: D86C5300 44000007
	ds_read_b32 v69, v7 offset:21312                           // 00000001ECA4: D86C5340 45000007
	ds_read_b32 v70, v7 offset:21376                           // 00000001ECAC: D86C5380 46000007
	ds_read_b32 v71, v7 offset:21440                           // 00000001ECB4: D86C53C0 47000007
	ds_read_b32 v72, v7 offset:21504                           // 00000001ECBC: D86C5400 48000007
	ds_read_b32 v73, v7 offset:21568                           // 00000001ECC4: D86C5440 49000007
	ds_read_b32 v74, v7 offset:21632                           // 00000001ECCC: D86C5480 4A000007
	ds_read_b32 v75, v7 offset:21696                           // 00000001ECD4: D86C54C0 4B000007
	ds_read_b32 v76, v7 offset:21760                           // 00000001ECDC: D86C5500 4C000007
	ds_read_b32 v77, v7 offset:21824                           // 00000001ECE4: D86C5540 4D000007
	ds_read_b32 v78, v7 offset:21888                           // 00000001ECEC: D86C5580 4E000007
	ds_read_b32 v79, v7 offset:21952                           // 00000001ECF4: D86C55C0 4F000007
	v_mul_f32_e32 v39, v50, v39                                // 00000001ECFC: 0A4E4F32
	v_mov_b32_e32 v15, v128                                    // 00000001ED00: 7E1E0380
	v_add_f32_e32 v15, v129, v15                               // 00000001ED04: 021E1F81
	v_add_f32_e32 v15, v130, v15                               // 00000001ED08: 021E1F82
	v_add_f32_e32 v15, v131, v15                               // 00000001ED0C: 021E1F83
	v_add_f32_e32 v15, v132, v15                               // 00000001ED10: 021E1F84
	v_add_f32_e32 v15, v133, v15                               // 00000001ED14: 021E1F85
	v_add_f32_e32 v15, v134, v15                               // 00000001ED18: 021E1F86
	v_add_f32_e32 v15, v135, v15                               // 00000001ED1C: 021E1F87
	v_add_f32_e32 v15, v136, v15                               // 00000001ED20: 021E1F88
	v_add_f32_e32 v15, v137, v15                               // 00000001ED24: 021E1F89
	v_add_f32_e32 v15, v138, v15                               // 00000001ED28: 021E1F8A
	v_add_f32_e32 v15, v139, v15                               // 00000001ED2C: 021E1F8B
	v_add_f32_e32 v15, v140, v15                               // 00000001ED30: 021E1F8C
	v_add_f32_e32 v15, v141, v15                               // 00000001ED34: 021E1F8D
	v_add_f32_e32 v15, v142, v15                               // 00000001ED38: 021E1F8E
	v_add_f32_e32 v15, v143, v15                               // 00000001ED3C: 021E1F8F
	v_add_f32_e32 v39, v15, v39                                // 00000001ED40: 024E4F0F
	s_waitcnt lgkmcnt(0)                                       // 00000001ED44: BF8CC07F
	v_max3_f32 v48, |v64|, |v65|, v48                          // 00000001ED48: D1D30330 04C28340
	v_max3_f32 v48, |v66|, |v67|, v48                          // 00000001ED50: D1D30330 04C28742
	v_max3_f32 v48, |v68|, |v69|, v48                          // 00000001ED58: D1D30330 04C28B44
	v_max3_f32 v48, |v70|, |v71|, v48                          // 00000001ED60: D1D30330 04C28F46
	v_max3_f32 v48, |v72|, |v73|, v48                          // 00000001ED68: D1D30330 04C29348
	v_max3_f32 v48, |v74|, |v75|, v48                          // 00000001ED70: D1D30330 04C2974A
	v_max3_f32 v48, |v76|, |v77|, v48                          // 00000001ED78: D1D30330 04C29B4C
	v_max3_f32 v48, |v78|, |v79|, v48                          // 00000001ED80: D1D30330 04C29F4E
	s_nop 2                                                    // 00000001ED88: BF800002
	v_rcp_f32_e32 v48, v48                                     // 00000001ED8C: 7E604530
	s_nop 1                                                    // 00000001ED90: BF800001
	v_mul_f32_e32 v48, 0x42fe0000, v48                         // 00000001ED94: 0A6060FF 42FE0000
	v_mul_f32_e32 v128, v48, v240                              // 00000001ED9C: 0B01E130
	v_mul_f32_e32 v129, v48, v241                              // 00000001EDA0: 0B03E330
	v_mul_f32_e32 v130, v48, v242                              // 00000001EDA4: 0B05E530
	v_mul_f32_e32 v131, v48, v243                              // 00000001EDA8: 0B07E730
	v_mul_f32_e32 v132, v48, v244                              // 00000001EDAC: 0B09E930
	v_mul_f32_e32 v133, v48, v245                              // 00000001EDB0: 0B0BEB30
	v_mul_f32_e32 v134, v48, v246                              // 00000001EDB4: 0B0DED30
	v_mul_f32_e32 v135, v48, v247                              // 00000001EDB8: 0B0FEF30
	v_mul_f32_e32 v136, v48, v248                              // 00000001EDBC: 0B11F130
	v_mul_f32_e32 v137, v48, v249                              // 00000001EDC0: 0B13F330
	v_mul_f32_e32 v138, v48, v250                              // 00000001EDC4: 0B15F530
	v_mul_f32_e32 v139, v48, v251                              // 00000001EDC8: 0B17F730
	v_mul_f32_e32 v140, v48, v252                              // 00000001EDCC: 0B19F930
	v_mul_f32_e32 v141, v48, v253                              // 00000001EDD0: 0B1BFB30
	v_mul_f32_e32 v142, v48, v254                              // 00000001EDD4: 0B1DFD30
	v_mul_f32_e32 v143, v48, v255                              // 00000001EDD8: 0B1FFF30
	v_cvt_i32_f32_e32 v128, v128                               // 00000001EDDC: 7F001180
	v_cvt_i32_f32_e32 v129, v129                               // 00000001EDE0: 7F021181
	v_cvt_i32_f32_e32 v130, v130                               // 00000001EDE4: 7F041182
	v_cvt_i32_f32_e32 v131, v131                               // 00000001EDE8: 7F061183
	v_cvt_i32_f32_e32 v132, v132                               // 00000001EDEC: 7F081184
	v_cvt_i32_f32_e32 v133, v133                               // 00000001EDF0: 7F0A1185
	v_cvt_i32_f32_e32 v134, v134                               // 00000001EDF4: 7F0C1186
	v_cvt_i32_f32_e32 v135, v135                               // 00000001EDF8: 7F0E1187
	v_cvt_i32_f32_e32 v136, v136                               // 00000001EDFC: 7F101188
	v_cvt_i32_f32_e32 v137, v137                               // 00000001EE00: 7F121189
	v_cvt_i32_f32_e32 v138, v138                               // 00000001EE04: 7F14118A
	v_cvt_i32_f32_e32 v139, v139                               // 00000001EE08: 7F16118B
	v_cvt_i32_f32_e32 v140, v140                               // 00000001EE0C: 7F18118C
	v_cvt_i32_f32_e32 v141, v141                               // 00000001EE10: 7F1A118D
	v_cvt_i32_f32_e32 v142, v142                               // 00000001EE14: 7F1C118E
	v_cvt_i32_f32_e32 v143, v143                               // 00000001EE18: 7F1E118F
	v_perm_b32 v128, v129, v128, s53                           // 00000001EE1C: D1ED0080 00D70181
	v_perm_b32 v128, v130, v128, s54                           // 00000001EE24: D1ED0080 00DB0182
	v_perm_b32 v128, v131, v128, s55                           // 00000001EE2C: D1ED0080 00DF0183
	v_perm_b32 v129, v133, v132, s53                           // 00000001EE34: D1ED0081 00D70985
	v_perm_b32 v129, v134, v129, s54                           // 00000001EE3C: D1ED0081 00DB0386
	v_perm_b32 v129, v135, v129, s55                           // 00000001EE44: D1ED0081 00DF0387
	v_perm_b32 v130, v137, v136, s53                           // 00000001EE4C: D1ED0082 00D71189
	v_perm_b32 v130, v138, v130, s54                           // 00000001EE54: D1ED0082 00DB058A
	v_perm_b32 v130, v139, v130, s55                           // 00000001EE5C: D1ED0082 00DF058B
	v_perm_b32 v131, v141, v140, s53                           // 00000001EE64: D1ED0083 00D7198D
	v_perm_b32 v131, v142, v131, s54                           // 00000001EE6C: D1ED0083 00DB078E
	v_perm_b32 v131, v143, v131, s55                           // 00000001EE74: D1ED0083 00DF078F
	ds_write_b32 v10, v128 offset:29184                        // 00000001EE7C: D81A7200 0000800A
	ds_write_b32 v10, v129 offset:30208                        // 00000001EE84: D81A7600 0000810A
	ds_write_b32 v10, v130 offset:31232                        // 00000001EE8C: D81A7A00 0000820A
	ds_write_b32 v10, v131 offset:32256                        // 00000001EE94: D81A7E00 0000830A
	v_add_f32_e32 v216, v216, v184                             // 00000001EE9C: 03B171D8
	v_add_f32_e32 v217, v217, v185                             // 00000001EEA0: 03B373D9
	v_add_f32_e32 v218, v218, v186                             // 00000001EEA4: 03B575DA
	v_add_f32_e32 v219, v219, v187                             // 00000001EEA8: 03B777DB
	v_add_f32_e32 v220, v220, v188                             // 00000001EEAC: 03B979DC
	v_add_f32_e32 v221, v221, v189                             // 00000001EEB0: 03BB7BDD
	v_add_f32_e32 v222, v222, v190                             // 00000001EEB4: 03BD7DDE
	v_add_f32_e32 v223, v223, v191                             // 00000001EEB8: 03BF7FDF
	v_rcp_f32_e32 v45, v48                                     // 00000001EEBC: 7E5A4530
	s_waitcnt lgkmcnt(0)                                       // 00000001EEC0: BF8CC07F
	s_barrier                                                  // 00000001EEC4: BF8A0000
	ds_read_b64 v[128:129], v9 offset:29184                    // 00000001EEC8: D8EC7200 80000009
	ds_read_b64 v[130:131], v9 offset:29312                    // 00000001EED0: D8EC7280 82000009
	ds_read_b64 v[132:133], v9 offset:30208                    // 00000001EED8: D8EC7600 84000009
	ds_read_b64 v[134:135], v9 offset:30336                    // 00000001EEE0: D8EC7680 86000009
	ds_read_b64 v[136:137], v9 offset:31232                    // 00000001EEE8: D8EC7A00 88000009
	ds_read_b64 v[138:139], v9 offset:31360                    // 00000001EEF0: D8EC7A80 8A000009
	ds_read_b64 v[140:141], v9 offset:32256                    // 00000001EEF8: D8EC7E00 8C000009
	ds_read_b64 v[142:143], v9 offset:32384                    // 00000001EF00: D8EC7E80 8E000009
	v_mov_b32_dpp v64, v43 row_shr:4 row_mask:0xf bank_mask:0xf// 00000001EF08: 7E8002FA FF01142B
	v_mov_b32_dpp v65, v43 row_shl:4 row_mask:0xf bank_mask:0xf// 00000001EF10: 7E8202FA FF01042B
	v_cndmask_b32_e64 v248, v43, v64, s[44:45]                 // 00000001EF18: D10000F8 00B2812B
	v_cndmask_b32_e64 v249, v65, v43, s[44:45]                 // 00000001EF20: D10000F9 00B25741
	v_mov_b32_dpp v64, v248 row_shr:8 row_mask:0xf bank_mask:0xf// 00000001EF28: 7E8002FA FF0118F8
	v_mov_b32_dpp v65, v248 row_shl:8 row_mask:0xf bank_mask:0xf// 00000001EF30: 7E8202FA FF0108F8
	v_mov_b32_dpp v66, v249 row_shr:8 row_mask:0xf bank_mask:0xf// 00000001EF38: 7E8402FA FF0118F9
	v_mov_b32_dpp v67, v249 row_shl:8 row_mask:0xf bank_mask:0xf// 00000001EF40: 7E8602FA FF0108F9
	v_mov_b32_e32 v68, v248                                    // 00000001EF48: 7E8803F8
	v_mov_b32_e32 v69, v249                                    // 00000001EF4C: 7E8A03F9
	v_cndmask_b32_e64 v248, v68, v64, s[42:43]                 // 00000001EF50: D10000F8 00AA8144
	v_cndmask_b32_e64 v250, v68, v65, s[78:79]                 // 00000001EF58: D10000FA 013A8344
	v_cndmask_b32_e64 v249, v69, v66, s[42:43]                 // 00000001EF60: D10000F9 00AA8545
	v_cndmask_b32_e64 v251, v69, v67, s[78:79]                 // 00000001EF68: D10000FB 013A8745
	v_mov_b32_dpp v64, v58 row_shr:4 row_mask:0xf bank_mask:0xf// 00000001EF70: 7E8002FA FF01143A
	v_mov_b32_dpp v65, v58 row_shl:4 row_mask:0xf bank_mask:0xf// 00000001EF78: 7E8202FA FF01043A
	v_cndmask_b32_e64 v252, v58, v64, s[44:45]                 // 00000001EF80: D10000FC 00B2813A
	v_cndmask_b32_e64 v253, v65, v58, s[44:45]                 // 00000001EF88: D10000FD 00B27541
	v_mov_b32_dpp v64, v252 row_shr:8 row_mask:0xf bank_mask:0xf// 00000001EF90: 7E8002FA FF0118FC
	v_mov_b32_dpp v65, v252 row_shl:8 row_mask:0xf bank_mask:0xf// 00000001EF98: 7E8202FA FF0108FC
	v_mov_b32_dpp v66, v253 row_shr:8 row_mask:0xf bank_mask:0xf// 00000001EFA0: 7E8402FA FF0118FD
	v_mov_b32_dpp v67, v253 row_shl:8 row_mask:0xf bank_mask:0xf// 00000001EFA8: 7E8602FA FF0108FD
	v_mov_b32_e32 v68, v252                                    // 00000001EFB0: 7E8803FC
	v_mov_b32_e32 v69, v253                                    // 00000001EFB4: 7E8A03FD
	v_cndmask_b32_e64 v252, v68, v64, s[42:43]                 // 00000001EFB8: D10000FC 00AA8144
	v_cndmask_b32_e64 v254, v68, v65, s[78:79]                 // 00000001EFC0: D10000FE 013A8344
	v_cndmask_b32_e64 v253, v69, v66, s[42:43]                 // 00000001EFC8: D10000FD 00AA8545
	v_cndmask_b32_e64 v255, v69, v67, s[78:79]                 // 00000001EFD0: D10000FF 013A8745
	v_cvt_f32_i32_e32 v144, v144                               // 00000001EFD8: 7F200B90
	v_cvt_f32_i32_e32 v145, v145                               // 00000001EFDC: 7F220B91
	v_cvt_f32_i32_e32 v146, v146                               // 00000001EFE0: 7F240B92
	v_cvt_f32_i32_e32 v147, v147                               // 00000001EFE4: 7F260B93
	v_cvt_f32_i32_e32 v148, v148                               // 00000001EFE8: 7F280B94
	v_cvt_f32_i32_e32 v149, v149                               // 00000001EFEC: 7F2A0B95
	v_cvt_f32_i32_e32 v150, v150                               // 00000001EFF0: 7F2C0B96
	v_cvt_f32_i32_e32 v151, v151                               // 00000001EFF4: 7F2E0B97
	v_cvt_f32_i32_e32 v152, v152                               // 00000001EFF8: 7F300B98
	v_cvt_f32_i32_e32 v153, v153                               // 00000001EFFC: 7F320B99
	v_cvt_f32_i32_e32 v154, v154                               // 00000001F000: 7F340B9A
	v_cvt_f32_i32_e32 v155, v155                               // 00000001F004: 7F360B9B
	v_cvt_f32_i32_e32 v156, v156                               // 00000001F008: 7F380B9C
	v_cvt_f32_i32_e32 v157, v157                               // 00000001F00C: 7F3A0B9D
	v_cvt_f32_i32_e32 v158, v158                               // 00000001F010: 7F3C0B9E
	v_cvt_f32_i32_e32 v159, v159                               // 00000001F014: 7F3E0B9F
	v_mul_f32_e32 v144, v20, v144                              // 00000001F018: 0B212114
	v_mul_f32_e32 v145, v20, v145                              // 00000001F01C: 0B232314
	v_mul_f32_e32 v146, v20, v146                              // 00000001F020: 0B252514
	v_mul_f32_e32 v147, v20, v147                              // 00000001F024: 0B272714
	v_mul_f32_e32 v148, v20, v148                              // 00000001F028: 0B292914
	v_mul_f32_e32 v149, v20, v149                              // 00000001F02C: 0B2B2B14
	v_mul_f32_e32 v150, v20, v150                              // 00000001F030: 0B2D2D14
	v_mul_f32_e32 v151, v20, v151                              // 00000001F034: 0B2F2F14
	v_mul_f32_e32 v152, v20, v152                              // 00000001F038: 0B313114
	v_mul_f32_e32 v153, v20, v153                              // 00000001F03C: 0B333314
	v_mul_f32_e32 v154, v20, v154                              // 00000001F040: 0B353514
	v_mul_f32_e32 v155, v20, v155                              // 00000001F044: 0B373714
	v_mul_f32_e32 v156, v20, v156                              // 00000001F048: 0B393914
	v_mul_f32_e32 v157, v20, v157                              // 00000001F04C: 0B3B3B14
	v_mul_f32_e32 v158, v20, v158                              // 00000001F050: 0B3D3D14
	v_mul_f32_e32 v159, v20, v159                              // 00000001F054: 0B3F3F14
	v_mul_f32_dpp v144, v248, v144 quad_perm:[0,0,0,0] row_mask:0xf bank_mask:0xf// 00000001F058: 0B2120FA FF0000F8
	v_mul_f32_dpp v145, v248, v145 quad_perm:[1,1,1,1] row_mask:0xf bank_mask:0xf// 00000001F060: 0B2322FA FF0055F8
	v_mul_f32_dpp v146, v248, v146 quad_perm:[2,2,2,2] row_mask:0xf bank_mask:0xf// 00000001F068: 0B2524FA FF00AAF8
	v_mul_f32_dpp v147, v248, v147 quad_perm:[3,3,3,3] row_mask:0xf bank_mask:0xf// 00000001F070: 0B2726FA FF00FFF8
	v_mul_f32_dpp v148, v249, v148 quad_perm:[0,0,0,0] row_mask:0xf bank_mask:0xf// 00000001F078: 0B2928FA FF0000F9
	v_mul_f32_dpp v149, v249, v149 quad_perm:[1,1,1,1] row_mask:0xf bank_mask:0xf// 00000001F080: 0B2B2AFA FF0055F9
	v_mul_f32_dpp v150, v249, v150 quad_perm:[2,2,2,2] row_mask:0xf bank_mask:0xf// 00000001F088: 0B2D2CFA FF00AAF9
	v_mul_f32_dpp v151, v249, v151 quad_perm:[3,3,3,3] row_mask:0xf bank_mask:0xf// 00000001F090: 0B2F2EFA FF00FFF9
	v_mul_f32_dpp v152, v250, v152 quad_perm:[0,0,0,0] row_mask:0xf bank_mask:0xf// 00000001F098: 0B3130FA FF0000FA
	v_mul_f32_dpp v153, v250, v153 quad_perm:[1,1,1,1] row_mask:0xf bank_mask:0xf// 00000001F0A0: 0B3332FA FF0055FA
	v_mul_f32_dpp v154, v250, v154 quad_perm:[2,2,2,2] row_mask:0xf bank_mask:0xf// 00000001F0A8: 0B3534FA FF00AAFA
	v_mul_f32_dpp v155, v250, v155 quad_perm:[3,3,3,3] row_mask:0xf bank_mask:0xf// 00000001F0B0: 0B3736FA FF00FFFA
	v_mul_f32_dpp v156, v251, v156 quad_perm:[0,0,0,0] row_mask:0xf bank_mask:0xf// 00000001F0B8: 0B3938FA FF0000FB
	v_mul_f32_dpp v157, v251, v157 quad_perm:[1,1,1,1] row_mask:0xf bank_mask:0xf// 00000001F0C0: 0B3B3AFA FF0055FB
	v_mul_f32_dpp v158, v251, v158 quad_perm:[2,2,2,2] row_mask:0xf bank_mask:0xf// 00000001F0C8: 0B3D3CFA FF00AAFB
	v_mul_f32_dpp v159, v251, v159 quad_perm:[3,3,3,3] row_mask:0xf bank_mask:0xf// 00000001F0D0: 0B3F3EFA FF00FFFB
	v_mov_b32_e32 v48, v144                                    // 00000001F0D8: 7E600390
	v_max3_f32 v48, v144, v145, v48                            // 00000001F0DC: D1D30030 04C32390
	v_max3_f32 v48, v146, v147, v48                            // 00000001F0E4: D1D30030 04C32792
	v_max3_f32 v48, v148, v149, v48                            // 00000001F0EC: D1D30030 04C32B94
	v_max3_f32 v48, v150, v151, v48                            // 00000001F0F4: D1D30030 04C32F96
	v_max3_f32 v48, v152, v153, v48                            // 00000001F0FC: D1D30030 04C33398
	v_max3_f32 v48, v154, v155, v48                            // 00000001F104: D1D30030 04C3379A
	v_max3_f32 v48, v156, v157, v48                            // 00000001F10C: D1D30030 04C33B9C
	v_max3_f32 v48, v158, v159, v48                            // 00000001F114: D1D30030 04C33F9E
	ds_write_b32 v8, v48 offset:16896                          // 00000001F11C: D81A4200 00003008
	v_mul_f32_e32 v224, v51, v224                              // 00000001F124: 0BC1C133
	v_mul_f32_e32 v225, v51, v225                              // 00000001F128: 0BC3C333
	v_mul_f32_e32 v226, v51, v226                              // 00000001F12C: 0BC5C533
	v_mul_f32_e32 v227, v51, v227                              // 00000001F130: 0BC7C733
	v_mul_f32_e32 v228, v51, v228                              // 00000001F134: 0BC9C933
	v_mul_f32_e32 v229, v51, v229                              // 00000001F138: 0BCBCB33
	v_mul_f32_e32 v230, v51, v230                              // 00000001F13C: 0BCDCD33
	v_mul_f32_e32 v231, v51, v231                              // 00000001F140: 0BCFCF33
	s_waitcnt lgkmcnt(0)                                       // 00000001F144: BF8CC07F
	s_barrier                                                  // 00000001F148: BF8A0000
	ds_read_b32 v64, v7 offset:16896                           // 00000001F14C: D86C4200 40000007
	ds_read_b32 v65, v7 offset:16960                           // 00000001F154: D86C4240 41000007
	ds_read_b32 v66, v7 offset:17024                           // 00000001F15C: D86C4280 42000007
	ds_read_b32 v67, v7 offset:17088                           // 00000001F164: D86C42C0 43000007
	ds_read_b32 v68, v7 offset:17152                           // 00000001F16C: D86C4300 44000007
	ds_read_b32 v69, v7 offset:17216                           // 00000001F174: D86C4340 45000007
	ds_read_b32 v70, v7 offset:17280                           // 00000001F17C: D86C4380 46000007
	ds_read_b32 v71, v7 offset:17344                           // 00000001F184: D86C43C0 47000007
	ds_read_b32 v72, v7 offset:17408                           // 00000001F18C: D86C4400 48000007
	ds_read_b32 v73, v7 offset:17472                           // 00000001F194: D86C4440 49000007
	ds_read_b32 v74, v7 offset:17536                           // 00000001F19C: D86C4480 4A000007
	ds_read_b32 v75, v7 offset:17600                           // 00000001F1A4: D86C44C0 4B000007
	ds_read_b32 v76, v7 offset:17664                           // 00000001F1AC: D86C4500 4C000007
	ds_read_b32 v77, v7 offset:17728                           // 00000001F1B4: D86C4540 4D000007
	ds_read_b32 v78, v7 offset:17792                           // 00000001F1BC: D86C4580 4E000007
	ds_read_b32 v79, v7 offset:17856                           // 00000001F1C4: D86C45C0 4F000007
	v_cvt_f32_i32_e32 v192, v192                               // 00000001F1CC: 7F800BC0
	v_cvt_f32_i32_e32 v193, v193                               // 00000001F1D0: 7F820BC1
	v_cvt_f32_i32_e32 v194, v194                               // 00000001F1D4: 7F840BC2
	v_cvt_f32_i32_e32 v195, v195                               // 00000001F1D8: 7F860BC3
	v_cvt_f32_i32_e32 v196, v196                               // 00000001F1DC: 7F880BC4
	v_cvt_f32_i32_e32 v197, v197                               // 00000001F1E0: 7F8A0BC5
	v_cvt_f32_i32_e32 v198, v198                               // 00000001F1E4: 7F8C0BC6
	v_cvt_f32_i32_e32 v199, v199                               // 00000001F1E8: 7F8E0BC7
	v_mul_f32_e32 v192, v46, v192                              // 00000001F1EC: 0B81812E
	v_mul_f32_e32 v193, v46, v193                              // 00000001F1F0: 0B83832E
	v_mul_f32_e32 v194, v46, v194                              // 00000001F1F4: 0B85852E
	v_mul_f32_e32 v195, v46, v195                              // 00000001F1F8: 0B87872E
	v_mul_f32_e32 v196, v46, v196                              // 00000001F1FC: 0B89892E
	v_mul_f32_e32 v197, v46, v197                              // 00000001F200: 0B8B8B2E
	v_mul_f32_e32 v198, v46, v198                              // 00000001F204: 0B8D8D2E
	v_mul_f32_e32 v199, v46, v199                              // 00000001F208: 0B8F8F2E
	s_waitcnt lgkmcnt(0)                                       // 00000001F20C: BF8CC07F
	v_max3_f32 v48, v64, v65, v48                              // 00000001F210: D1D30030 04C28340
	v_max3_f32 v48, v66, v67, v48                              // 00000001F218: D1D30030 04C28742
	v_max3_f32 v48, v68, v69, v48                              // 00000001F220: D1D30030 04C28B44
	v_max3_f32 v48, v70, v71, v48                              // 00000001F228: D1D30030 04C28F46
	v_max3_f32 v48, v72, v73, v48                              // 00000001F230: D1D30030 04C29348
	v_max3_f32 v48, v74, v75, v48                              // 00000001F238: D1D30030 04C2974A
	v_max3_f32 v48, v76, v77, v48                              // 00000001F240: D1D30030 04C29B4C
	v_max3_f32 v48, v78, v79, v48                              // 00000001F248: D1D30030 04C29F4E
	v_mov_b32_e32 v64, 0xff800000                              // 00000001F250: 7E8002FF FF800000
	v_cmp_eq_u32_e64 s[40:41], v64, v13                        // 00000001F258: D0CA0028 00021B40
	s_nop 1                                                    // 00000001F260: BF800001
	v_max_f32_e32 v15, v48, v13                                // 00000001F264: 161E1B30
	v_mul_f32_e32 v53, s64, v15                                // 00000001F268: 0A6A1E40
	v_fma_f32 v144, v144, s64, -v53                            // 00000001F26C: D1CB0090 84D48190
	v_fma_f32 v145, v145, s64, -v53                            // 00000001F274: D1CB0091 84D48191
	v_fma_f32 v146, v146, s64, -v53                            // 00000001F27C: D1CB0092 84D48192
	v_fma_f32 v147, v147, s64, -v53                            // 00000001F284: D1CB0093 84D48193
	v_fma_f32 v148, v148, s64, -v53                            // 00000001F28C: D1CB0094 84D48194
	v_fma_f32 v149, v149, s64, -v53                            // 00000001F294: D1CB0095 84D48195
	v_fma_f32 v150, v150, s64, -v53                            // 00000001F29C: D1CB0096 84D48196
	v_fma_f32 v151, v151, s64, -v53                            // 00000001F2A4: D1CB0097 84D48197
	v_fma_f32 v152, v152, s64, -v53                            // 00000001F2AC: D1CB0098 84D48198
	v_fma_f32 v153, v153, s64, -v53                            // 00000001F2B4: D1CB0099 84D48199
	v_fma_f32 v154, v154, s64, -v53                            // 00000001F2BC: D1CB009A 84D4819A
	v_fma_f32 v155, v155, s64, -v53                            // 00000001F2C4: D1CB009B 84D4819B
	v_fma_f32 v156, v156, s64, -v53                            // 00000001F2CC: D1CB009C 84D4819C
	v_fma_f32 v157, v157, s64, -v53                            // 00000001F2D4: D1CB009D 84D4819D
	v_fma_f32 v158, v158, s64, -v53                            // 00000001F2DC: D1CB009E 84D4819E
	v_fma_f32 v159, v159, s64, -v53                            // 00000001F2E4: D1CB009F 84D4819F
	v_exp_f32_e32 v144, v144                                   // 00000001F2EC: 7F204190
	v_exp_f32_e32 v145, v145                                   // 00000001F2F0: 7F224191
	v_exp_f32_e32 v146, v146                                   // 00000001F2F4: 7F244192
	v_exp_f32_e32 v147, v147                                   // 00000001F2F8: 7F264193
	v_exp_f32_e32 v148, v148                                   // 00000001F2FC: 7F284194
	v_exp_f32_e32 v149, v149                                   // 00000001F300: 7F2A4195
	v_exp_f32_e32 v150, v150                                   // 00000001F304: 7F2C4196
	v_exp_f32_e32 v151, v151                                   // 00000001F308: 7F2E4197
	v_exp_f32_e32 v152, v152                                   // 00000001F30C: 7F304198
	v_exp_f32_e32 v153, v153                                   // 00000001F310: 7F324199
	v_exp_f32_e32 v154, v154                                   // 00000001F314: 7F34419A
	v_exp_f32_e32 v155, v155                                   // 00000001F318: 7F36419B
	v_exp_f32_e32 v156, v156                                   // 00000001F31C: 7F38419C
	v_exp_f32_e32 v157, v157                                   // 00000001F320: 7F3A419D
	v_exp_f32_e32 v158, v158                                   // 00000001F324: 7F3C419E
	v_exp_f32_e32 v159, v159                                   // 00000001F328: 7F3E419F
	v_mul_f32_dpp v240, v252, v144 quad_perm:[0,0,0,0] row_mask:0xf bank_mask:0xf// 00000001F32C: 0BE120FA FF0000FC
	v_mul_f32_dpp v241, v252, v145 quad_perm:[1,1,1,1] row_mask:0xf bank_mask:0xf// 00000001F334: 0BE322FA FF0055FC
	v_mul_f32_dpp v242, v252, v146 quad_perm:[2,2,2,2] row_mask:0xf bank_mask:0xf// 00000001F33C: 0BE524FA FF00AAFC
	v_mul_f32_dpp v243, v252, v147 quad_perm:[3,3,3,3] row_mask:0xf bank_mask:0xf// 00000001F344: 0BE726FA FF00FFFC
	v_mul_f32_dpp v244, v253, v148 quad_perm:[0,0,0,0] row_mask:0xf bank_mask:0xf// 00000001F34C: 0BE928FA FF0000FD
	v_mul_f32_dpp v245, v253, v149 quad_perm:[1,1,1,1] row_mask:0xf bank_mask:0xf// 00000001F354: 0BEB2AFA FF0055FD
	v_mul_f32_dpp v246, v253, v150 quad_perm:[2,2,2,2] row_mask:0xf bank_mask:0xf// 00000001F35C: 0BED2CFA FF00AAFD
	v_mul_f32_dpp v247, v253, v151 quad_perm:[3,3,3,3] row_mask:0xf bank_mask:0xf// 00000001F364: 0BEF2EFA FF00FFFD
	v_mul_f32_dpp v248, v254, v152 quad_perm:[0,0,0,0] row_mask:0xf bank_mask:0xf// 00000001F36C: 0BF130FA FF0000FE
	v_mul_f32_dpp v249, v254, v153 quad_perm:[1,1,1,1] row_mask:0xf bank_mask:0xf// 00000001F374: 0BF332FA FF0055FE
	v_mul_f32_dpp v250, v254, v154 quad_perm:[2,2,2,2] row_mask:0xf bank_mask:0xf// 00000001F37C: 0BF534FA FF00AAFE
	v_mul_f32_dpp v251, v254, v155 quad_perm:[3,3,3,3] row_mask:0xf bank_mask:0xf// 00000001F384: 0BF736FA FF00FFFE
	v_mul_f32_dpp v252, v255, v156 quad_perm:[0,0,0,0] row_mask:0xf bank_mask:0xf// 00000001F38C: 0BF938FA FF0000FF
	v_mul_f32_dpp v253, v255, v157 quad_perm:[1,1,1,1] row_mask:0xf bank_mask:0xf// 00000001F394: 0BFB3AFA FF0055FF
	v_mul_f32_dpp v254, v255, v158 quad_perm:[2,2,2,2] row_mask:0xf bank_mask:0xf// 00000001F39C: 0BFD3CFA FF00AAFF
	v_mul_f32_dpp v255, v255, v159 quad_perm:[3,3,3,3] row_mask:0xf bank_mask:0xf// 00000001F3A4: 0BFF3EFA FF00FFFF
	v_mov_b32_e32 v48, 0x358637bd                              // 00000001F3AC: 7E6002FF 358637BD
	v_max3_f32 v48, |v240|, |v241|, v48                        // 00000001F3B4: D1D30330 04C3E3F0
	v_max3_f32 v48, |v242|, |v243|, v48                        // 00000001F3BC: D1D30330 04C3E7F2
	v_max3_f32 v48, |v244|, |v245|, v48                        // 00000001F3C4: D1D30330 04C3EBF4
	v_max3_f32 v48, |v246|, |v247|, v48                        // 00000001F3CC: D1D30330 04C3EFF6
	v_max3_f32 v48, |v248|, |v249|, v48                        // 00000001F3D4: D1D30330 04C3F3F8
	v_max3_f32 v48, |v250|, |v251|, v48                        // 00000001F3DC: D1D30330 04C3F7FA
	v_max3_f32 v48, |v252|, |v253|, v48                        // 00000001F3E4: D1D30330 04C3FBFC
	v_max3_f32 v48, |v254|, |v255|, v48                        // 00000001F3EC: D1D30330 04C3FFFE
	ds_write_b32 v8, v48 offset:20992                          // 00000001F3F4: D81A5200 00003008
	v_sub_f32_e32 v51, v13, v15                                // 00000001F3FC: 04661F0D
	v_cndmask_b32_e64 v51, v51, 0, s[40:41]                    // 00000001F400: D1000033 00A10133
	v_mov_b32_e32 v13, v15                                     // 00000001F408: 7E1A030F
	v_mul_f32_e32 v51, s64, v51                                // 00000001F40C: 0A666640
	v_exp_f32_e32 v51, v51                                     // 00000001F410: 7E664133
	s_waitcnt lgkmcnt(0)                                       // 00000001F414: BF8CC07F
	s_barrier                                                  // 00000001F418: BF8A0000
	ds_read_b32 v64, v7 offset:20992                           // 00000001F41C: D86C5200 40000007
	ds_read_b32 v65, v7 offset:21056                           // 00000001F424: D86C5240 41000007
	ds_read_b32 v66, v7 offset:21120                           // 00000001F42C: D86C5280 42000007
	ds_read_b32 v67, v7 offset:21184                           // 00000001F434: D86C52C0 43000007
	ds_read_b32 v68, v7 offset:21248                           // 00000001F43C: D86C5300 44000007
	ds_read_b32 v69, v7 offset:21312                           // 00000001F444: D86C5340 45000007
	ds_read_b32 v70, v7 offset:21376                           // 00000001F44C: D86C5380 46000007
	ds_read_b32 v71, v7 offset:21440                           // 00000001F454: D86C53C0 47000007
	ds_read_b32 v72, v7 offset:21504                           // 00000001F45C: D86C5400 48000007
	ds_read_b32 v73, v7 offset:21568                           // 00000001F464: D86C5440 49000007
	ds_read_b32 v74, v7 offset:21632                           // 00000001F46C: D86C5480 4A000007
	ds_read_b32 v75, v7 offset:21696                           // 00000001F474: D86C54C0 4B000007
	ds_read_b32 v76, v7 offset:21760                           // 00000001F47C: D86C5500 4C000007
	ds_read_b32 v77, v7 offset:21824                           // 00000001F484: D86C5540 4D000007
	ds_read_b32 v78, v7 offset:21888                           // 00000001F48C: D86C5580 4E000007
	ds_read_b32 v79, v7 offset:21952                           // 00000001F494: D86C55C0 4F000007
	v_mul_f32_e32 v40, v51, v40                                // 00000001F49C: 0A505133
	v_mov_b32_e32 v15, v144                                    // 00000001F4A0: 7E1E0390
	v_add_f32_e32 v15, v145, v15                               // 00000001F4A4: 021E1F91
	v_add_f32_e32 v15, v146, v15                               // 00000001F4A8: 021E1F92
	v_add_f32_e32 v15, v147, v15                               // 00000001F4AC: 021E1F93
	v_add_f32_e32 v15, v148, v15                               // 00000001F4B0: 021E1F94
	v_add_f32_e32 v15, v149, v15                               // 00000001F4B4: 021E1F95
	v_add_f32_e32 v15, v150, v15                               // 00000001F4B8: 021E1F96
	v_add_f32_e32 v15, v151, v15                               // 00000001F4BC: 021E1F97
	v_add_f32_e32 v15, v152, v15                               // 00000001F4C0: 021E1F98
	v_add_f32_e32 v15, v153, v15                               // 00000001F4C4: 021E1F99
	v_add_f32_e32 v15, v154, v15                               // 00000001F4C8: 021E1F9A
	v_add_f32_e32 v15, v155, v15                               // 00000001F4CC: 021E1F9B
	v_add_f32_e32 v15, v156, v15                               // 00000001F4D0: 021E1F9C
	v_add_f32_e32 v15, v157, v15                               // 00000001F4D4: 021E1F9D
	v_add_f32_e32 v15, v158, v15                               // 00000001F4D8: 021E1F9E
	v_add_f32_e32 v15, v159, v15                               // 00000001F4DC: 021E1F9F
	v_add_f32_e32 v40, v15, v40                                // 00000001F4E0: 0250510F
	s_waitcnt lgkmcnt(0)                                       // 00000001F4E4: BF8CC07F
	v_max3_f32 v48, |v64|, |v65|, v48                          // 00000001F4E8: D1D30330 04C28340
	v_max3_f32 v48, |v66|, |v67|, v48                          // 00000001F4F0: D1D30330 04C28742
	v_max3_f32 v48, |v68|, |v69|, v48                          // 00000001F4F8: D1D30330 04C28B44
	v_max3_f32 v48, |v70|, |v71|, v48                          // 00000001F500: D1D30330 04C28F46
	v_max3_f32 v48, |v72|, |v73|, v48                          // 00000001F508: D1D30330 04C29348
	v_max3_f32 v48, |v74|, |v75|, v48                          // 00000001F510: D1D30330 04C2974A
	v_max3_f32 v48, |v76|, |v77|, v48                          // 00000001F518: D1D30330 04C29B4C
	v_max3_f32 v48, |v78|, |v79|, v48                          // 00000001F520: D1D30330 04C29F4E
	s_nop 2                                                    // 00000001F528: BF800002
	v_rcp_f32_e32 v48, v48                                     // 00000001F52C: 7E604530
	s_nop 1                                                    // 00000001F530: BF800001
	v_mul_f32_e32 v48, 0x42fe0000, v48                         // 00000001F534: 0A6060FF 42FE0000
	v_mul_f32_e32 v144, v48, v240                              // 00000001F53C: 0B21E130
	v_mul_f32_e32 v145, v48, v241                              // 00000001F540: 0B23E330
	v_mul_f32_e32 v146, v48, v242                              // 00000001F544: 0B25E530
	v_mul_f32_e32 v147, v48, v243                              // 00000001F548: 0B27E730
	v_mul_f32_e32 v148, v48, v244                              // 00000001F54C: 0B29E930
	v_mul_f32_e32 v149, v48, v245                              // 00000001F550: 0B2BEB30
	v_mul_f32_e32 v150, v48, v246                              // 00000001F554: 0B2DED30
	v_mul_f32_e32 v151, v48, v247                              // 00000001F558: 0B2FEF30
	v_mul_f32_e32 v152, v48, v248                              // 00000001F55C: 0B31F130
	v_mul_f32_e32 v153, v48, v249                              // 00000001F560: 0B33F330
	v_mul_f32_e32 v154, v48, v250                              // 00000001F564: 0B35F530
	v_mul_f32_e32 v155, v48, v251                              // 00000001F568: 0B37F730
	v_mul_f32_e32 v156, v48, v252                              // 00000001F56C: 0B39F930
	v_mul_f32_e32 v157, v48, v253                              // 00000001F570: 0B3BFB30
	v_mul_f32_e32 v158, v48, v254                              // 00000001F574: 0B3DFD30
	v_mul_f32_e32 v159, v48, v255                              // 00000001F578: 0B3FFF30
	v_cvt_i32_f32_e32 v144, v144                               // 00000001F57C: 7F201190
	v_cvt_i32_f32_e32 v145, v145                               // 00000001F580: 7F221191
	v_cvt_i32_f32_e32 v146, v146                               // 00000001F584: 7F241192
	v_cvt_i32_f32_e32 v147, v147                               // 00000001F588: 7F261193
	v_cvt_i32_f32_e32 v148, v148                               // 00000001F58C: 7F281194
	v_cvt_i32_f32_e32 v149, v149                               // 00000001F590: 7F2A1195
	v_cvt_i32_f32_e32 v150, v150                               // 00000001F594: 7F2C1196
	v_cvt_i32_f32_e32 v151, v151                               // 00000001F598: 7F2E1197
	v_cvt_i32_f32_e32 v152, v152                               // 00000001F59C: 7F301198
	v_cvt_i32_f32_e32 v153, v153                               // 00000001F5A0: 7F321199
	v_cvt_i32_f32_e32 v154, v154                               // 00000001F5A4: 7F34119A
	v_cvt_i32_f32_e32 v155, v155                               // 00000001F5A8: 7F36119B
	v_cvt_i32_f32_e32 v156, v156                               // 00000001F5AC: 7F38119C
	v_cvt_i32_f32_e32 v157, v157                               // 00000001F5B0: 7F3A119D
	v_cvt_i32_f32_e32 v158, v158                               // 00000001F5B4: 7F3C119E
	v_cvt_i32_f32_e32 v159, v159                               // 00000001F5B8: 7F3E119F
	v_perm_b32 v144, v145, v144, s53                           // 00000001F5BC: D1ED0090 00D72191
	v_perm_b32 v144, v146, v144, s54                           // 00000001F5C4: D1ED0090 00DB2192
	v_perm_b32 v144, v147, v144, s55                           // 00000001F5CC: D1ED0090 00DF2193
	v_perm_b32 v145, v149, v148, s53                           // 00000001F5D4: D1ED0091 00D72995
	v_perm_b32 v145, v150, v145, s54                           // 00000001F5DC: D1ED0091 00DB2396
	v_perm_b32 v145, v151, v145, s55                           // 00000001F5E4: D1ED0091 00DF2397
	v_perm_b32 v146, v153, v152, s53                           // 00000001F5EC: D1ED0092 00D73199
	v_perm_b32 v146, v154, v146, s54                           // 00000001F5F4: D1ED0092 00DB259A
	v_perm_b32 v146, v155, v146, s55                           // 00000001F5FC: D1ED0092 00DF259B
	v_perm_b32 v147, v157, v156, s53                           // 00000001F604: D1ED0093 00D7399D
	v_perm_b32 v147, v158, v147, s54                           // 00000001F60C: D1ED0093 00DB279E
	v_perm_b32 v147, v159, v147, s55                           // 00000001F614: D1ED0093 00DF279F
	ds_write_b32 v10, v144 offset:33280                        // 00000001F61C: D81A8200 0000900A
	ds_write_b32 v10, v145 offset:34304                        // 00000001F624: D81A8600 0000910A
	ds_write_b32 v10, v146 offset:35328                        // 00000001F62C: D81A8A00 0000920A
	ds_write_b32 v10, v147 offset:36352                        // 00000001F634: D81A8E00 0000930A
	v_add_f32_e32 v224, v224, v192                             // 00000001F63C: 03C181E0
	v_add_f32_e32 v225, v225, v193                             // 00000001F640: 03C383E1
	v_add_f32_e32 v226, v226, v194                             // 00000001F644: 03C585E2
	v_add_f32_e32 v227, v227, v195                             // 00000001F648: 03C787E3
	v_add_f32_e32 v228, v228, v196                             // 00000001F64C: 03C989E4
	v_add_f32_e32 v229, v229, v197                             // 00000001F650: 03CB8BE5
	v_add_f32_e32 v230, v230, v198                             // 00000001F654: 03CD8DE6
	v_add_f32_e32 v231, v231, v199                             // 00000001F658: 03CF8FE7
	v_rcp_f32_e32 v46, v48                                     // 00000001F65C: 7E5C4530
	s_waitcnt lgkmcnt(0)                                       // 00000001F660: BF8CC07F
	s_barrier                                                  // 00000001F664: BF8A0000
	ds_read_b64 v[144:145], v9 offset:33280                    // 00000001F668: D8EC8200 90000009
	ds_read_b64 v[146:147], v9 offset:33408                    // 00000001F670: D8EC8280 92000009
	ds_read_b64 v[148:149], v9 offset:34304                    // 00000001F678: D8EC8600 94000009
	ds_read_b64 v[150:151], v9 offset:34432                    // 00000001F680: D8EC8680 96000009
	ds_read_b64 v[152:153], v9 offset:35328                    // 00000001F688: D8EC8A00 98000009
	ds_read_b64 v[154:155], v9 offset:35456                    // 00000001F690: D8EC8A80 9A000009
	ds_read_b64 v[156:157], v9 offset:36352                    // 00000001F698: D8EC8E00 9C000009
	ds_read_b64 v[158:159], v9 offset:36480                    // 00000001F6A0: D8EC8E80 9E000009
	v_mov_b32_dpp v64, v43 row_shr:4 row_mask:0xf bank_mask:0xf// 00000001F6A8: 7E8002FA FF01142B
	v_mov_b32_dpp v65, v43 row_shl:4 row_mask:0xf bank_mask:0xf// 00000001F6B0: 7E8202FA FF01042B
	v_cndmask_b32_e64 v248, v43, v64, s[44:45]                 // 00000001F6B8: D10000F8 00B2812B
	v_cndmask_b32_e64 v249, v65, v43, s[44:45]                 // 00000001F6C0: D10000F9 00B25741
	v_mov_b32_dpp v64, v248 row_shr:8 row_mask:0xf bank_mask:0xf// 00000001F6C8: 7E8002FA FF0118F8
	v_mov_b32_dpp v65, v248 row_shl:8 row_mask:0xf bank_mask:0xf// 00000001F6D0: 7E8202FA FF0108F8
	v_mov_b32_dpp v66, v249 row_shr:8 row_mask:0xf bank_mask:0xf// 00000001F6D8: 7E8402FA FF0118F9
	v_mov_b32_dpp v67, v249 row_shl:8 row_mask:0xf bank_mask:0xf// 00000001F6E0: 7E8602FA FF0108F9
	v_mov_b32_e32 v68, v248                                    // 00000001F6E8: 7E8803F8
	v_mov_b32_e32 v69, v249                                    // 00000001F6EC: 7E8A03F9
	v_cndmask_b32_e64 v248, v68, v64, s[42:43]                 // 00000001F6F0: D10000F8 00AA8144
	v_cndmask_b32_e64 v250, v68, v65, s[78:79]                 // 00000001F6F8: D10000FA 013A8344
	v_cndmask_b32_e64 v249, v69, v66, s[42:43]                 // 00000001F700: D10000F9 00AA8545
	v_cndmask_b32_e64 v251, v69, v67, s[78:79]                 // 00000001F708: D10000FB 013A8745
	v_mov_b32_dpp v64, v58 row_shr:4 row_mask:0xf bank_mask:0xf// 00000001F710: 7E8002FA FF01143A
	v_mov_b32_dpp v65, v58 row_shl:4 row_mask:0xf bank_mask:0xf// 00000001F718: 7E8202FA FF01043A
	v_cndmask_b32_e64 v252, v58, v64, s[44:45]                 // 00000001F720: D10000FC 00B2813A
	v_cndmask_b32_e64 v253, v65, v58, s[44:45]                 // 00000001F728: D10000FD 00B27541
	v_mov_b32_dpp v64, v252 row_shr:8 row_mask:0xf bank_mask:0xf// 00000001F730: 7E8002FA FF0118FC
	v_mov_b32_dpp v65, v252 row_shl:8 row_mask:0xf bank_mask:0xf// 00000001F738: 7E8202FA FF0108FC
	v_mov_b32_dpp v66, v253 row_shr:8 row_mask:0xf bank_mask:0xf// 00000001F740: 7E8402FA FF0118FD
	v_mov_b32_dpp v67, v253 row_shl:8 row_mask:0xf bank_mask:0xf// 00000001F748: 7E8602FA FF0108FD
	v_mov_b32_e32 v68, v252                                    // 00000001F750: 7E8803FC
	v_mov_b32_e32 v69, v253                                    // 00000001F754: 7E8A03FD
	v_cndmask_b32_e64 v252, v68, v64, s[42:43]                 // 00000001F758: D10000FC 00AA8144
	v_cndmask_b32_e64 v254, v68, v65, s[78:79]                 // 00000001F760: D10000FE 013A8344
	v_cndmask_b32_e64 v253, v69, v66, s[42:43]                 // 00000001F768: D10000FD 00AA8545
	v_cndmask_b32_e64 v255, v69, v67, s[78:79]                 // 00000001F770: D10000FF 013A8745
	v_cvt_f32_i32_e32 v160, v160                               // 00000001F778: 7F400BA0
	v_cvt_f32_i32_e32 v161, v161                               // 00000001F77C: 7F420BA1
	v_cvt_f32_i32_e32 v162, v162                               // 00000001F780: 7F440BA2
	v_cvt_f32_i32_e32 v163, v163                               // 00000001F784: 7F460BA3
	v_cvt_f32_i32_e32 v164, v164                               // 00000001F788: 7F480BA4
	v_cvt_f32_i32_e32 v165, v165                               // 00000001F78C: 7F4A0BA5
	v_cvt_f32_i32_e32 v166, v166                               // 00000001F790: 7F4C0BA6
	v_cvt_f32_i32_e32 v167, v167                               // 00000001F794: 7F4E0BA7
	v_cvt_f32_i32_e32 v168, v168                               // 00000001F798: 7F500BA8
	v_cvt_f32_i32_e32 v169, v169                               // 00000001F79C: 7F520BA9
	v_cvt_f32_i32_e32 v170, v170                               // 00000001F7A0: 7F540BAA
	v_cvt_f32_i32_e32 v171, v171                               // 00000001F7A4: 7F560BAB
	v_cvt_f32_i32_e32 v172, v172                               // 00000001F7A8: 7F580BAC
	v_cvt_f32_i32_e32 v173, v173                               // 00000001F7AC: 7F5A0BAD
	v_cvt_f32_i32_e32 v174, v174                               // 00000001F7B0: 7F5C0BAE
	v_cvt_f32_i32_e32 v175, v175                               // 00000001F7B4: 7F5E0BAF
	v_mul_f32_e32 v160, v21, v160                              // 00000001F7B8: 0B414115
	v_mul_f32_e32 v161, v21, v161                              // 00000001F7BC: 0B434315
	v_mul_f32_e32 v162, v21, v162                              // 00000001F7C0: 0B454515
	v_mul_f32_e32 v163, v21, v163                              // 00000001F7C4: 0B474715
	v_mul_f32_e32 v164, v21, v164                              // 00000001F7C8: 0B494915
	v_mul_f32_e32 v165, v21, v165                              // 00000001F7CC: 0B4B4B15
	v_mul_f32_e32 v166, v21, v166                              // 00000001F7D0: 0B4D4D15
	v_mul_f32_e32 v167, v21, v167                              // 00000001F7D4: 0B4F4F15
	v_mul_f32_e32 v168, v21, v168                              // 00000001F7D8: 0B515115
	v_mul_f32_e32 v169, v21, v169                              // 00000001F7DC: 0B535315
	v_mul_f32_e32 v170, v21, v170                              // 00000001F7E0: 0B555515
	v_mul_f32_e32 v171, v21, v171                              // 00000001F7E4: 0B575715
	v_mul_f32_e32 v172, v21, v172                              // 00000001F7E8: 0B595915
	v_mul_f32_e32 v173, v21, v173                              // 00000001F7EC: 0B5B5B15
	v_mul_f32_e32 v174, v21, v174                              // 00000001F7F0: 0B5D5D15
	v_mul_f32_e32 v175, v21, v175                              // 00000001F7F4: 0B5F5F15
	v_mul_f32_dpp v160, v248, v160 quad_perm:[0,0,0,0] row_mask:0xf bank_mask:0xf// 00000001F7F8: 0B4140FA FF0000F8
	v_mul_f32_dpp v161, v248, v161 quad_perm:[1,1,1,1] row_mask:0xf bank_mask:0xf// 00000001F800: 0B4342FA FF0055F8
	v_mul_f32_dpp v162, v248, v162 quad_perm:[2,2,2,2] row_mask:0xf bank_mask:0xf// 00000001F808: 0B4544FA FF00AAF8
	v_mul_f32_dpp v163, v248, v163 quad_perm:[3,3,3,3] row_mask:0xf bank_mask:0xf// 00000001F810: 0B4746FA FF00FFF8
	v_mul_f32_dpp v164, v249, v164 quad_perm:[0,0,0,0] row_mask:0xf bank_mask:0xf// 00000001F818: 0B4948FA FF0000F9
	v_mul_f32_dpp v165, v249, v165 quad_perm:[1,1,1,1] row_mask:0xf bank_mask:0xf// 00000001F820: 0B4B4AFA FF0055F9
	v_mul_f32_dpp v166, v249, v166 quad_perm:[2,2,2,2] row_mask:0xf bank_mask:0xf// 00000001F828: 0B4D4CFA FF00AAF9
	v_mul_f32_dpp v167, v249, v167 quad_perm:[3,3,3,3] row_mask:0xf bank_mask:0xf// 00000001F830: 0B4F4EFA FF00FFF9
	v_mul_f32_dpp v168, v250, v168 quad_perm:[0,0,0,0] row_mask:0xf bank_mask:0xf// 00000001F838: 0B5150FA FF0000FA
	v_mul_f32_dpp v169, v250, v169 quad_perm:[1,1,1,1] row_mask:0xf bank_mask:0xf// 00000001F840: 0B5352FA FF0055FA
	v_mul_f32_dpp v170, v250, v170 quad_perm:[2,2,2,2] row_mask:0xf bank_mask:0xf// 00000001F848: 0B5554FA FF00AAFA
	v_mul_f32_dpp v171, v250, v171 quad_perm:[3,3,3,3] row_mask:0xf bank_mask:0xf// 00000001F850: 0B5756FA FF00FFFA
	v_mul_f32_dpp v172, v251, v172 quad_perm:[0,0,0,0] row_mask:0xf bank_mask:0xf// 00000001F858: 0B5958FA FF0000FB
	v_mul_f32_dpp v173, v251, v173 quad_perm:[1,1,1,1] row_mask:0xf bank_mask:0xf// 00000001F860: 0B5B5AFA FF0055FB
	v_mul_f32_dpp v174, v251, v174 quad_perm:[2,2,2,2] row_mask:0xf bank_mask:0xf// 00000001F868: 0B5D5CFA FF00AAFB
	v_mul_f32_dpp v175, v251, v175 quad_perm:[3,3,3,3] row_mask:0xf bank_mask:0xf// 00000001F870: 0B5F5EFA FF00FFFB
	v_mov_b32_e32 v48, v160                                    // 00000001F878: 7E6003A0
	v_max3_f32 v48, v160, v161, v48                            // 00000001F87C: D1D30030 04C343A0
	v_max3_f32 v48, v162, v163, v48                            // 00000001F884: D1D30030 04C347A2
	v_max3_f32 v48, v164, v165, v48                            // 00000001F88C: D1D30030 04C34BA4
	v_max3_f32 v48, v166, v167, v48                            // 00000001F894: D1D30030 04C34FA6
	v_max3_f32 v48, v168, v169, v48                            // 00000001F89C: D1D30030 04C353A8
	v_max3_f32 v48, v170, v171, v48                            // 00000001F8A4: D1D30030 04C357AA
	v_max3_f32 v48, v172, v173, v48                            // 00000001F8AC: D1D30030 04C35BAC
	v_max3_f32 v48, v174, v175, v48                            // 00000001F8B4: D1D30030 04C35FAE
	ds_write_b32 v8, v48 offset:16896                          // 00000001F8BC: D81A4200 00003008
	v_mul_f32_e32 v232, v52, v232                              // 00000001F8C4: 0BD1D134
	v_mul_f32_e32 v233, v52, v233                              // 00000001F8C8: 0BD3D334
	v_mul_f32_e32 v234, v52, v234                              // 00000001F8CC: 0BD5D534
	v_mul_f32_e32 v235, v52, v235                              // 00000001F8D0: 0BD7D734
	v_mul_f32_e32 v236, v52, v236                              // 00000001F8D4: 0BD9D934
	v_mul_f32_e32 v237, v52, v237                              // 00000001F8D8: 0BDBDB34
	v_mul_f32_e32 v238, v52, v238                              // 00000001F8DC: 0BDDDD34
	v_mul_f32_e32 v239, v52, v239                              // 00000001F8E0: 0BDFDF34
	s_waitcnt lgkmcnt(0)                                       // 00000001F8E4: BF8CC07F
	s_barrier                                                  // 00000001F8E8: BF8A0000
	ds_read_b32 v64, v7 offset:16896                           // 00000001F8EC: D86C4200 40000007
	ds_read_b32 v65, v7 offset:16960                           // 00000001F8F4: D86C4240 41000007
	ds_read_b32 v66, v7 offset:17024                           // 00000001F8FC: D86C4280 42000007
	ds_read_b32 v67, v7 offset:17088                           // 00000001F904: D86C42C0 43000007
	ds_read_b32 v68, v7 offset:17152                           // 00000001F90C: D86C4300 44000007
	ds_read_b32 v69, v7 offset:17216                           // 00000001F914: D86C4340 45000007
	ds_read_b32 v70, v7 offset:17280                           // 00000001F91C: D86C4380 46000007
	ds_read_b32 v71, v7 offset:17344                           // 00000001F924: D86C43C0 47000007
	ds_read_b32 v72, v7 offset:17408                           // 00000001F92C: D86C4400 48000007
	ds_read_b32 v73, v7 offset:17472                           // 00000001F934: D86C4440 49000007
	ds_read_b32 v74, v7 offset:17536                           // 00000001F93C: D86C4480 4A000007
	ds_read_b32 v75, v7 offset:17600                           // 00000001F944: D86C44C0 4B000007
	ds_read_b32 v76, v7 offset:17664                           // 00000001F94C: D86C4500 4C000007
	ds_read_b32 v77, v7 offset:17728                           // 00000001F954: D86C4540 4D000007
	ds_read_b32 v78, v7 offset:17792                           // 00000001F95C: D86C4580 4E000007
	ds_read_b32 v79, v7 offset:17856                           // 00000001F964: D86C45C0 4F000007
	v_cvt_f32_i32_e32 v200, v200                               // 00000001F96C: 7F900BC8
	v_cvt_f32_i32_e32 v201, v201                               // 00000001F970: 7F920BC9
	v_cvt_f32_i32_e32 v202, v202                               // 00000001F974: 7F940BCA
	v_cvt_f32_i32_e32 v203, v203                               // 00000001F978: 7F960BCB
	v_cvt_f32_i32_e32 v204, v204                               // 00000001F97C: 7F980BCC
	v_cvt_f32_i32_e32 v205, v205                               // 00000001F980: 7F9A0BCD
	v_cvt_f32_i32_e32 v206, v206                               // 00000001F984: 7F9C0BCE
	v_cvt_f32_i32_e32 v207, v207                               // 00000001F988: 7F9E0BCF
	v_mul_f32_e32 v200, v47, v200                              // 00000001F98C: 0B91912F
	v_mul_f32_e32 v201, v47, v201                              // 00000001F990: 0B93932F
	v_mul_f32_e32 v202, v47, v202                              // 00000001F994: 0B95952F
	v_mul_f32_e32 v203, v47, v203                              // 00000001F998: 0B97972F
	v_mul_f32_e32 v204, v47, v204                              // 00000001F99C: 0B99992F
	v_mul_f32_e32 v205, v47, v205                              // 00000001F9A0: 0B9B9B2F
	v_mul_f32_e32 v206, v47, v206                              // 00000001F9A4: 0B9D9D2F
	v_mul_f32_e32 v207, v47, v207                              // 00000001F9A8: 0B9F9F2F
	s_waitcnt lgkmcnt(0)                                       // 00000001F9AC: BF8CC07F
	v_max3_f32 v48, v64, v65, v48                              // 00000001F9B0: D1D30030 04C28340
	v_max3_f32 v48, v66, v67, v48                              // 00000001F9B8: D1D30030 04C28742
	v_max3_f32 v48, v68, v69, v48                              // 00000001F9C0: D1D30030 04C28B44
	v_max3_f32 v48, v70, v71, v48                              // 00000001F9C8: D1D30030 04C28F46
	v_max3_f32 v48, v72, v73, v48                              // 00000001F9D0: D1D30030 04C29348
	v_max3_f32 v48, v74, v75, v48                              // 00000001F9D8: D1D30030 04C2974A
	v_max3_f32 v48, v76, v77, v48                              // 00000001F9E0: D1D30030 04C29B4C
	v_max3_f32 v48, v78, v79, v48                              // 00000001F9E8: D1D30030 04C29F4E
	v_mov_b32_e32 v64, 0xff800000                              // 00000001F9F0: 7E8002FF FF800000
	v_cmp_eq_u32_e64 s[40:41], v64, v14                        // 00000001F9F8: D0CA0028 00021D40
	s_nop 1                                                    // 00000001FA00: BF800001
	v_max_f32_e32 v15, v48, v14                                // 00000001FA04: 161E1D30
	v_mul_f32_e32 v53, s64, v15                                // 00000001FA08: 0A6A1E40
	v_fma_f32 v160, v160, s64, -v53                            // 00000001FA0C: D1CB00A0 84D481A0
	v_fma_f32 v161, v161, s64, -v53                            // 00000001FA14: D1CB00A1 84D481A1
	v_fma_f32 v162, v162, s64, -v53                            // 00000001FA1C: D1CB00A2 84D481A2
	v_fma_f32 v163, v163, s64, -v53                            // 00000001FA24: D1CB00A3 84D481A3
	v_fma_f32 v164, v164, s64, -v53                            // 00000001FA2C: D1CB00A4 84D481A4
	v_fma_f32 v165, v165, s64, -v53                            // 00000001FA34: D1CB00A5 84D481A5
	v_fma_f32 v166, v166, s64, -v53                            // 00000001FA3C: D1CB00A6 84D481A6
	v_fma_f32 v167, v167, s64, -v53                            // 00000001FA44: D1CB00A7 84D481A7
	v_fma_f32 v168, v168, s64, -v53                            // 00000001FA4C: D1CB00A8 84D481A8
	v_fma_f32 v169, v169, s64, -v53                            // 00000001FA54: D1CB00A9 84D481A9
	v_fma_f32 v170, v170, s64, -v53                            // 00000001FA5C: D1CB00AA 84D481AA
	v_fma_f32 v171, v171, s64, -v53                            // 00000001FA64: D1CB00AB 84D481AB
	v_fma_f32 v172, v172, s64, -v53                            // 00000001FA6C: D1CB00AC 84D481AC
	v_fma_f32 v173, v173, s64, -v53                            // 00000001FA74: D1CB00AD 84D481AD
	v_fma_f32 v174, v174, s64, -v53                            // 00000001FA7C: D1CB00AE 84D481AE
	v_fma_f32 v175, v175, s64, -v53                            // 00000001FA84: D1CB00AF 84D481AF
	v_exp_f32_e32 v160, v160                                   // 00000001FA8C: 7F4041A0
	v_exp_f32_e32 v161, v161                                   // 00000001FA90: 7F4241A1
	v_exp_f32_e32 v162, v162                                   // 00000001FA94: 7F4441A2
	v_exp_f32_e32 v163, v163                                   // 00000001FA98: 7F4641A3
	v_exp_f32_e32 v164, v164                                   // 00000001FA9C: 7F4841A4
	v_exp_f32_e32 v165, v165                                   // 00000001FAA0: 7F4A41A5
	v_exp_f32_e32 v166, v166                                   // 00000001FAA4: 7F4C41A6
	v_exp_f32_e32 v167, v167                                   // 00000001FAA8: 7F4E41A7
	v_exp_f32_e32 v168, v168                                   // 00000001FAAC: 7F5041A8
	v_exp_f32_e32 v169, v169                                   // 00000001FAB0: 7F5241A9
	v_exp_f32_e32 v170, v170                                   // 00000001FAB4: 7F5441AA
	v_exp_f32_e32 v171, v171                                   // 00000001FAB8: 7F5641AB
	v_exp_f32_e32 v172, v172                                   // 00000001FABC: 7F5841AC
	v_exp_f32_e32 v173, v173                                   // 00000001FAC0: 7F5A41AD
	v_exp_f32_e32 v174, v174                                   // 00000001FAC4: 7F5C41AE
	v_exp_f32_e32 v175, v175                                   // 00000001FAC8: 7F5E41AF
	v_mul_f32_dpp v240, v252, v160 quad_perm:[0,0,0,0] row_mask:0xf bank_mask:0xf// 00000001FACC: 0BE140FA FF0000FC
	v_mul_f32_dpp v241, v252, v161 quad_perm:[1,1,1,1] row_mask:0xf bank_mask:0xf// 00000001FAD4: 0BE342FA FF0055FC
	v_mul_f32_dpp v242, v252, v162 quad_perm:[2,2,2,2] row_mask:0xf bank_mask:0xf// 00000001FADC: 0BE544FA FF00AAFC
	v_mul_f32_dpp v243, v252, v163 quad_perm:[3,3,3,3] row_mask:0xf bank_mask:0xf// 00000001FAE4: 0BE746FA FF00FFFC
	v_mul_f32_dpp v244, v253, v164 quad_perm:[0,0,0,0] row_mask:0xf bank_mask:0xf// 00000001FAEC: 0BE948FA FF0000FD
	v_mul_f32_dpp v245, v253, v165 quad_perm:[1,1,1,1] row_mask:0xf bank_mask:0xf// 00000001FAF4: 0BEB4AFA FF0055FD
	v_mul_f32_dpp v246, v253, v166 quad_perm:[2,2,2,2] row_mask:0xf bank_mask:0xf// 00000001FAFC: 0BED4CFA FF00AAFD
	v_mul_f32_dpp v247, v253, v167 quad_perm:[3,3,3,3] row_mask:0xf bank_mask:0xf// 00000001FB04: 0BEF4EFA FF00FFFD
	v_mul_f32_dpp v248, v254, v168 quad_perm:[0,0,0,0] row_mask:0xf bank_mask:0xf// 00000001FB0C: 0BF150FA FF0000FE
	v_mul_f32_dpp v249, v254, v169 quad_perm:[1,1,1,1] row_mask:0xf bank_mask:0xf// 00000001FB14: 0BF352FA FF0055FE
	v_mul_f32_dpp v250, v254, v170 quad_perm:[2,2,2,2] row_mask:0xf bank_mask:0xf// 00000001FB1C: 0BF554FA FF00AAFE
	v_mul_f32_dpp v251, v254, v171 quad_perm:[3,3,3,3] row_mask:0xf bank_mask:0xf// 00000001FB24: 0BF756FA FF00FFFE
	v_mul_f32_dpp v252, v255, v172 quad_perm:[0,0,0,0] row_mask:0xf bank_mask:0xf// 00000001FB2C: 0BF958FA FF0000FF
	v_mul_f32_dpp v253, v255, v173 quad_perm:[1,1,1,1] row_mask:0xf bank_mask:0xf// 00000001FB34: 0BFB5AFA FF0055FF
	v_mul_f32_dpp v254, v255, v174 quad_perm:[2,2,2,2] row_mask:0xf bank_mask:0xf// 00000001FB3C: 0BFD5CFA FF00AAFF
	v_mul_f32_dpp v255, v255, v175 quad_perm:[3,3,3,3] row_mask:0xf bank_mask:0xf// 00000001FB44: 0BFF5EFA FF00FFFF
	v_mov_b32_e32 v48, 0x358637bd                              // 00000001FB4C: 7E6002FF 358637BD
	v_max3_f32 v48, |v240|, |v241|, v48                        // 00000001FB54: D1D30330 04C3E3F0
	v_max3_f32 v48, |v242|, |v243|, v48                        // 00000001FB5C: D1D30330 04C3E7F2
	v_max3_f32 v48, |v244|, |v245|, v48                        // 00000001FB64: D1D30330 04C3EBF4
	v_max3_f32 v48, |v246|, |v247|, v48                        // 00000001FB6C: D1D30330 04C3EFF6
	v_max3_f32 v48, |v248|, |v249|, v48                        // 00000001FB74: D1D30330 04C3F3F8
	v_max3_f32 v48, |v250|, |v251|, v48                        // 00000001FB7C: D1D30330 04C3F7FA
	v_max3_f32 v48, |v252|, |v253|, v48                        // 00000001FB84: D1D30330 04C3FBFC
	v_max3_f32 v48, |v254|, |v255|, v48                        // 00000001FB8C: D1D30330 04C3FFFE
	ds_write_b32 v8, v48 offset:20992                          // 00000001FB94: D81A5200 00003008
	v_sub_f32_e32 v52, v14, v15                                // 00000001FB9C: 04681F0E
	v_cndmask_b32_e64 v52, v52, 0, s[40:41]                    // 00000001FBA0: D1000034 00A10134
	v_mov_b32_e32 v14, v15                                     // 00000001FBA8: 7E1C030F
	v_mul_f32_e32 v52, s64, v52                                // 00000001FBAC: 0A686840
	v_exp_f32_e32 v52, v52                                     // 00000001FBB0: 7E684134
	s_waitcnt lgkmcnt(0)                                       // 00000001FBB4: BF8CC07F
	s_barrier                                                  // 00000001FBB8: BF8A0000
	ds_read_b32 v64, v7 offset:20992                           // 00000001FBBC: D86C5200 40000007
	ds_read_b32 v65, v7 offset:21056                           // 00000001FBC4: D86C5240 41000007
	ds_read_b32 v66, v7 offset:21120                           // 00000001FBCC: D86C5280 42000007
	ds_read_b32 v67, v7 offset:21184                           // 00000001FBD4: D86C52C0 43000007
	ds_read_b32 v68, v7 offset:21248                           // 00000001FBDC: D86C5300 44000007
	ds_read_b32 v69, v7 offset:21312                           // 00000001FBE4: D86C5340 45000007
	ds_read_b32 v70, v7 offset:21376                           // 00000001FBEC: D86C5380 46000007
	ds_read_b32 v71, v7 offset:21440                           // 00000001FBF4: D86C53C0 47000007
	ds_read_b32 v72, v7 offset:21504                           // 00000001FBFC: D86C5400 48000007
	ds_read_b32 v73, v7 offset:21568                           // 00000001FC04: D86C5440 49000007
	ds_read_b32 v74, v7 offset:21632                           // 00000001FC0C: D86C5480 4A000007
	ds_read_b32 v75, v7 offset:21696                           // 00000001FC14: D86C54C0 4B000007
	ds_read_b32 v76, v7 offset:21760                           // 00000001FC1C: D86C5500 4C000007
	ds_read_b32 v77, v7 offset:21824                           // 00000001FC24: D86C5540 4D000007
	ds_read_b32 v78, v7 offset:21888                           // 00000001FC2C: D86C5580 4E000007
	ds_read_b32 v79, v7 offset:21952                           // 00000001FC34: D86C55C0 4F000007
	v_mul_f32_e32 v41, v52, v41                                // 00000001FC3C: 0A525334
	v_mov_b32_e32 v15, v160                                    // 00000001FC40: 7E1E03A0
	v_add_f32_e32 v15, v161, v15                               // 00000001FC44: 021E1FA1
	v_add_f32_e32 v15, v162, v15                               // 00000001FC48: 021E1FA2
	v_add_f32_e32 v15, v163, v15                               // 00000001FC4C: 021E1FA3
	v_add_f32_e32 v15, v164, v15                               // 00000001FC50: 021E1FA4
	v_add_f32_e32 v15, v165, v15                               // 00000001FC54: 021E1FA5
	v_add_f32_e32 v15, v166, v15                               // 00000001FC58: 021E1FA6
	v_add_f32_e32 v15, v167, v15                               // 00000001FC5C: 021E1FA7
	v_add_f32_e32 v15, v168, v15                               // 00000001FC60: 021E1FA8
	v_add_f32_e32 v15, v169, v15                               // 00000001FC64: 021E1FA9
	v_add_f32_e32 v15, v170, v15                               // 00000001FC68: 021E1FAA
	v_add_f32_e32 v15, v171, v15                               // 00000001FC6C: 021E1FAB
	v_add_f32_e32 v15, v172, v15                               // 00000001FC70: 021E1FAC
	v_add_f32_e32 v15, v173, v15                               // 00000001FC74: 021E1FAD
	v_add_f32_e32 v15, v174, v15                               // 00000001FC78: 021E1FAE
	v_add_f32_e32 v15, v175, v15                               // 00000001FC7C: 021E1FAF
	v_add_f32_e32 v41, v15, v41                                // 00000001FC80: 0252530F
	s_waitcnt lgkmcnt(0)                                       // 00000001FC84: BF8CC07F
	v_max3_f32 v48, |v64|, |v65|, v48                          // 00000001FC88: D1D30330 04C28340
	v_max3_f32 v48, |v66|, |v67|, v48                          // 00000001FC90: D1D30330 04C28742
	v_max3_f32 v48, |v68|, |v69|, v48                          // 00000001FC98: D1D30330 04C28B44
	v_max3_f32 v48, |v70|, |v71|, v48                          // 00000001FCA0: D1D30330 04C28F46
	v_max3_f32 v48, |v72|, |v73|, v48                          // 00000001FCA8: D1D30330 04C29348
	v_max3_f32 v48, |v74|, |v75|, v48                          // 00000001FCB0: D1D30330 04C2974A
	v_max3_f32 v48, |v76|, |v77|, v48                          // 00000001FCB8: D1D30330 04C29B4C
	v_max3_f32 v48, |v78|, |v79|, v48                          // 00000001FCC0: D1D30330 04C29F4E
	s_nop 2                                                    // 00000001FCC8: BF800002
	v_rcp_f32_e32 v48, v48                                     // 00000001FCCC: 7E604530
	s_nop 1                                                    // 00000001FCD0: BF800001
	v_mul_f32_e32 v48, 0x42fe0000, v48                         // 00000001FCD4: 0A6060FF 42FE0000
	v_mul_f32_e32 v160, v48, v240                              // 00000001FCDC: 0B41E130
	v_mul_f32_e32 v161, v48, v241                              // 00000001FCE0: 0B43E330
	v_mul_f32_e32 v162, v48, v242                              // 00000001FCE4: 0B45E530
	v_mul_f32_e32 v163, v48, v243                              // 00000001FCE8: 0B47E730
	v_mul_f32_e32 v164, v48, v244                              // 00000001FCEC: 0B49E930
	v_mul_f32_e32 v165, v48, v245                              // 00000001FCF0: 0B4BEB30
	v_mul_f32_e32 v166, v48, v246                              // 00000001FCF4: 0B4DED30
	v_mul_f32_e32 v167, v48, v247                              // 00000001FCF8: 0B4FEF30
	v_mul_f32_e32 v168, v48, v248                              // 00000001FCFC: 0B51F130
	v_mul_f32_e32 v169, v48, v249                              // 00000001FD00: 0B53F330
	v_mul_f32_e32 v170, v48, v250                              // 00000001FD04: 0B55F530
	v_mul_f32_e32 v171, v48, v251                              // 00000001FD08: 0B57F730
	v_mul_f32_e32 v172, v48, v252                              // 00000001FD0C: 0B59F930
	v_mul_f32_e32 v173, v48, v253                              // 00000001FD10: 0B5BFB30
	v_mul_f32_e32 v174, v48, v254                              // 00000001FD14: 0B5DFD30
	v_mul_f32_e32 v175, v48, v255                              // 00000001FD18: 0B5FFF30
	v_cvt_i32_f32_e32 v160, v160                               // 00000001FD1C: 7F4011A0
	v_cvt_i32_f32_e32 v161, v161                               // 00000001FD20: 7F4211A1
	v_cvt_i32_f32_e32 v162, v162                               // 00000001FD24: 7F4411A2
	v_cvt_i32_f32_e32 v163, v163                               // 00000001FD28: 7F4611A3
	v_cvt_i32_f32_e32 v164, v164                               // 00000001FD2C: 7F4811A4
	v_cvt_i32_f32_e32 v165, v165                               // 00000001FD30: 7F4A11A5
	v_cvt_i32_f32_e32 v166, v166                               // 00000001FD34: 7F4C11A6
	v_cvt_i32_f32_e32 v167, v167                               // 00000001FD38: 7F4E11A7
	v_cvt_i32_f32_e32 v168, v168                               // 00000001FD3C: 7F5011A8
	v_cvt_i32_f32_e32 v169, v169                               // 00000001FD40: 7F5211A9
	v_cvt_i32_f32_e32 v170, v170                               // 00000001FD44: 7F5411AA
	v_cvt_i32_f32_e32 v171, v171                               // 00000001FD48: 7F5611AB
	v_cvt_i32_f32_e32 v172, v172                               // 00000001FD4C: 7F5811AC
	v_cvt_i32_f32_e32 v173, v173                               // 00000001FD50: 7F5A11AD
	v_cvt_i32_f32_e32 v174, v174                               // 00000001FD54: 7F5C11AE
	v_cvt_i32_f32_e32 v175, v175                               // 00000001FD58: 7F5E11AF
	v_perm_b32 v160, v161, v160, s53                           // 00000001FD5C: D1ED00A0 00D741A1
	v_perm_b32 v160, v162, v160, s54                           // 00000001FD64: D1ED00A0 00DB41A2
	v_perm_b32 v160, v163, v160, s55                           // 00000001FD6C: D1ED00A0 00DF41A3
	v_perm_b32 v161, v165, v164, s53                           // 00000001FD74: D1ED00A1 00D749A5
	v_perm_b32 v161, v166, v161, s54                           // 00000001FD7C: D1ED00A1 00DB43A6
	v_perm_b32 v161, v167, v161, s55                           // 00000001FD84: D1ED00A1 00DF43A7
	v_perm_b32 v162, v169, v168, s53                           // 00000001FD8C: D1ED00A2 00D751A9
	v_perm_b32 v162, v170, v162, s54                           // 00000001FD94: D1ED00A2 00DB45AA
	v_perm_b32 v162, v171, v162, s55                           // 00000001FD9C: D1ED00A2 00DF45AB
	v_perm_b32 v163, v173, v172, s53                           // 00000001FDA4: D1ED00A3 00D759AD
	v_perm_b32 v163, v174, v163, s54                           // 00000001FDAC: D1ED00A3 00DB47AE
	v_perm_b32 v163, v175, v163, s55                           // 00000001FDB4: D1ED00A3 00DF47AF
	ds_write_b32 v10, v160 offset:37376                        // 00000001FDBC: D81A9200 0000A00A
	ds_write_b32 v10, v161 offset:38400                        // 00000001FDC4: D81A9600 0000A10A
	ds_write_b32 v10, v162 offset:39424                        // 00000001FDCC: D81A9A00 0000A20A
	ds_write_b32 v10, v163 offset:40448                        // 00000001FDD4: D81A9E00 0000A30A
	v_add_f32_e32 v232, v232, v200                             // 00000001FDDC: 03D191E8
	v_add_f32_e32 v233, v233, v201                             // 00000001FDE0: 03D393E9
	v_add_f32_e32 v234, v234, v202                             // 00000001FDE4: 03D595EA
	v_add_f32_e32 v235, v235, v203                             // 00000001FDE8: 03D797EB
	v_add_f32_e32 v236, v236, v204                             // 00000001FDEC: 03D999EC
	v_add_f32_e32 v237, v237, v205                             // 00000001FDF0: 03DB9BED
	v_add_f32_e32 v238, v238, v206                             // 00000001FDF4: 03DD9DEE
	v_add_f32_e32 v239, v239, v207                             // 00000001FDF8: 03DF9FEF
	v_rcp_f32_e32 v47, v48                                     // 00000001FDFC: 7E5E4530
	s_waitcnt lgkmcnt(0)                                       // 00000001FE00: BF8CC07F
	s_barrier                                                  // 00000001FE04: BF8A0000
	ds_read_b64 v[160:161], v9 offset:37376                    // 00000001FE08: D8EC9200 A0000009
	ds_read_b64 v[162:163], v9 offset:37504                    // 00000001FE10: D8EC9280 A2000009
	ds_read_b64 v[164:165], v9 offset:38400                    // 00000001FE18: D8EC9600 A4000009
	ds_read_b64 v[166:167], v9 offset:38528                    // 00000001FE20: D8EC9680 A6000009
	ds_read_b64 v[168:169], v9 offset:39424                    // 00000001FE28: D8EC9A00 A8000009
	ds_read_b64 v[170:171], v9 offset:39552                    // 00000001FE30: D8EC9A80 AA000009
	ds_read_b64 v[172:173], v9 offset:40448                    // 00000001FE38: D8EC9E00 AC000009
	ds_read_b64 v[174:175], v9 offset:40576                    // 00000001FE40: D8EC9E80 AE000009
	s_waitcnt vmcnt(15)                                        // 00000001FE48: BF8C0F7F
	v_mfma_i32_16x16x32_i8 v[176:179], a[96:97], v[112:113], 0 // 00000001FE4C: D3D700B0 0A02E160
	v_mfma_i32_16x16x32_i8 v[176:179], a[98:99], v[114:115], v[176:179]// 00000001FE54: D3D700B0 0EC2E562
	buffer_load_dwordx4 a[80:83], v30, s[20:23], 0 offen offset:1024// 00000001FE5C: E05C1400 8085501E
	v_mfma_i32_16x16x32_i8 v[176:179], a[100:101], v[116:117], v[176:179]// 00000001FE64: D3D700B0 0EC2E964
	v_mfma_i32_16x16x32_i8 v[176:179], a[102:103], v[118:119], v[176:179]// 00000001FE6C: D3D700B0 0EC2ED66
	v_mfma_i32_16x16x32_i8 v[176:179], a[104:105], v[120:121], v[176:179]// 00000001FE74: D3D700B0 0EC2F168
	v_mfma_i32_16x16x32_i8 v[176:179], a[106:107], v[122:123], v[176:179]// 00000001FE7C: D3D700B0 0EC2F56A
	buffer_load_dwordx4 a[84:87], v31, s[20:23], 0 offen offset:1024// 00000001FE84: E05C1400 8085541F
	v_mfma_i32_16x16x32_i8 v[176:179], a[108:109], v[124:125], v[176:179]// 00000001FE8C: D3D700B0 0EC2F96C
	v_mfma_i32_16x16x32_i8 v[176:179], a[110:111], v[126:127], v[176:179]// 00000001FE94: D3D700B0 0EC2FD6E
	v_mfma_i32_16x16x32_i8 v[180:183], a[112:113], v[112:113], 0// 00000001FE9C: D3D700B4 0A02E170
	v_mfma_i32_16x16x32_i8 v[180:183], a[114:115], v[114:115], v[180:183]// 00000001FEA4: D3D700B4 0ED2E572
	buffer_load_dwordx4 a[88:91], v32, s[20:23], 0 offen offset:1024// 00000001FEAC: E05C1400 80855820
	v_mfma_i32_16x16x32_i8 v[180:183], a[116:117], v[116:117], v[180:183]// 00000001FEB4: D3D700B4 0ED2E974
	v_mfma_i32_16x16x32_i8 v[180:183], a[118:119], v[118:119], v[180:183]// 00000001FEBC: D3D700B4 0ED2ED76
	v_mfma_i32_16x16x32_i8 v[180:183], a[120:121], v[120:121], v[180:183]// 00000001FEC4: D3D700B4 0ED2F178
	v_mfma_i32_16x16x32_i8 v[180:183], a[122:123], v[122:123], v[180:183]// 00000001FECC: D3D700B4 0ED2F57A
	buffer_load_dwordx4 a[92:95], v33, s[20:23], 0 offen offset:1024// 00000001FED4: E05C1400 80855C21
	v_mfma_i32_16x16x32_i8 v[180:183], a[124:125], v[124:125], v[180:183]// 00000001FEDC: D3D700B4 0ED2F97C
	s_lshr_b32 s57, s70, 4                                     // 00000001FEE4: 8F398446
	s_add_u32 s57, 48, s57                                     // 00000001FEE8: 803939B0
	v_mfma_i32_16x16x32_i8 v[180:183], a[126:127], v[126:127], v[180:183]// 00000001FEEC: D3D700B4 0ED2FD7E
	s_cmp_ge_u32 s57, s73                                      // 00000001FEF4: BF094939
	s_cselect_b32 s56, 0, s56                                  // 00000001FEF8: 85383880
	v_mfma_i32_16x16x32_i8 v[184:187], a[96:97], v[128:129], 0 // 00000001FEFC: D3D700B8 0A030160
	v_mfma_i32_16x16x32_i8 v[184:187], a[98:99], v[130:131], v[184:187]// 00000001FF04: D3D700B8 0EE30562
	v_mfma_i32_16x16x32_i8 v[184:187], a[100:101], v[132:133], v[184:187]// 00000001FF0C: D3D700B8 0EE30964
	v_mfma_i32_16x16x32_i8 v[184:187], a[102:103], v[134:135], v[184:187]// 00000001FF14: D3D700B8 0EE30D66
	v_mfma_i32_16x16x32_i8 v[184:187], a[104:105], v[136:137], v[184:187]// 00000001FF1C: D3D700B8 0EE31168
	v_mfma_i32_16x16x32_i8 v[184:187], a[106:107], v[138:139], v[184:187]// 00000001FF24: D3D700B8 0EE3156A
	v_mfma_i32_16x16x32_i8 v[184:187], a[108:109], v[140:141], v[184:187]// 00000001FF2C: D3D700B8 0EE3196C
	v_mfma_i32_16x16x32_i8 v[184:187], a[110:111], v[142:143], v[184:187]// 00000001FF34: D3D700B8 0EE31D6E
	v_mfma_i32_16x16x32_i8 v[188:191], a[112:113], v[128:129], 0// 00000001FF3C: D3D700BC 0A030170
	v_mfma_i32_16x16x32_i8 v[188:191], a[114:115], v[130:131], v[188:191]// 00000001FF44: D3D700BC 0EF30572
	v_mfma_i32_16x16x32_i8 v[188:191], a[116:117], v[132:133], v[188:191]// 00000001FF4C: D3D700BC 0EF30974
	v_mfma_i32_16x16x32_i8 v[188:191], a[118:119], v[134:135], v[188:191]// 00000001FF54: D3D700BC 0EF30D76
	v_mfma_i32_16x16x32_i8 v[188:191], a[120:121], v[136:137], v[188:191]// 00000001FF5C: D3D700BC 0EF31178
	v_mfma_i32_16x16x32_i8 v[188:191], a[122:123], v[138:139], v[188:191]// 00000001FF64: D3D700BC 0EF3157A
	v_mfma_i32_16x16x32_i8 v[188:191], a[124:125], v[140:141], v[188:191]// 00000001FF6C: D3D700BC 0EF3197C
	v_mfma_i32_16x16x32_i8 v[188:191], a[126:127], v[142:143], v[188:191]// 00000001FF74: D3D700BC 0EF31D7E
	v_mfma_i32_16x16x32_i8 v[192:195], a[96:97], v[144:145], 0 // 00000001FF7C: D3D700C0 0A032160
	v_mfma_i32_16x16x32_i8 v[192:195], a[98:99], v[146:147], v[192:195]// 00000001FF84: D3D700C0 0F032562
	v_mfma_i32_16x16x32_i8 v[192:195], a[100:101], v[148:149], v[192:195]// 00000001FF8C: D3D700C0 0F032964
	v_mfma_i32_16x16x32_i8 v[192:195], a[102:103], v[150:151], v[192:195]// 00000001FF94: D3D700C0 0F032D66
	v_mfma_i32_16x16x32_i8 v[192:195], a[104:105], v[152:153], v[192:195]// 00000001FF9C: D3D700C0 0F033168
	v_mfma_i32_16x16x32_i8 v[192:195], a[106:107], v[154:155], v[192:195]// 00000001FFA4: D3D700C0 0F03356A
	v_mfma_i32_16x16x32_i8 v[192:195], a[108:109], v[156:157], v[192:195]// 00000001FFAC: D3D700C0 0F03396C
	v_mfma_i32_16x16x32_i8 v[192:195], a[110:111], v[158:159], v[192:195]// 00000001FFB4: D3D700C0 0F033D6E
	v_mfma_i32_16x16x32_i8 v[196:199], a[112:113], v[144:145], 0// 00000001FFBC: D3D700C4 0A032170
	v_mfma_i32_16x16x32_i8 v[196:199], a[114:115], v[146:147], v[196:199]// 00000001FFC4: D3D700C4 0F132572
	v_mfma_i32_16x16x32_i8 v[196:199], a[116:117], v[148:149], v[196:199]// 00000001FFCC: D3D700C4 0F132974
	v_mfma_i32_16x16x32_i8 v[196:199], a[118:119], v[150:151], v[196:199]// 00000001FFD4: D3D700C4 0F132D76
	v_mfma_i32_16x16x32_i8 v[196:199], a[120:121], v[152:153], v[196:199]// 00000001FFDC: D3D700C4 0F133178
	v_mfma_i32_16x16x32_i8 v[196:199], a[122:123], v[154:155], v[196:199]// 00000001FFE4: D3D700C4 0F13357A
	v_mfma_i32_16x16x32_i8 v[196:199], a[124:125], v[156:157], v[196:199]// 00000001FFEC: D3D700C4 0F13397C
	v_mfma_i32_16x16x32_i8 v[196:199], a[126:127], v[158:159], v[196:199]// 00000001FFF4: D3D700C4 0F133D7E
	v_mfma_i32_16x16x32_i8 v[200:203], a[96:97], v[160:161], 0 // 00000001FFFC: D3D700C8 0A034160
	v_mfma_i32_16x16x32_i8 v[200:203], a[98:99], v[162:163], v[200:203]// 000000020004: D3D700C8 0F234562
	v_mfma_i32_16x16x32_i8 v[200:203], a[100:101], v[164:165], v[200:203]// 00000002000C: D3D700C8 0F234964
	v_mfma_i32_16x16x32_i8 v[200:203], a[102:103], v[166:167], v[200:203]// 000000020014: D3D700C8 0F234D66
	v_mfma_i32_16x16x32_i8 v[200:203], a[104:105], v[168:169], v[200:203]// 00000002001C: D3D700C8 0F235168
	v_mfma_i32_16x16x32_i8 v[200:203], a[106:107], v[170:171], v[200:203]// 000000020024: D3D700C8 0F23556A
	v_mfma_i32_16x16x32_i8 v[200:203], a[108:109], v[172:173], v[200:203]// 00000002002C: D3D700C8 0F23596C
	v_mfma_i32_16x16x32_i8 v[200:203], a[110:111], v[174:175], v[200:203]// 000000020034: D3D700C8 0F235D6E
	v_mfma_i32_16x16x32_i8 v[204:207], a[112:113], v[160:161], 0// 00000002003C: D3D700CC 0A034170
	v_mfma_i32_16x16x32_i8 v[204:207], a[114:115], v[162:163], v[204:207]// 000000020044: D3D700CC 0F334572
	v_mfma_i32_16x16x32_i8 v[204:207], a[116:117], v[164:165], v[204:207]// 00000002004C: D3D700CC 0F334974
	v_mfma_i32_16x16x32_i8 v[204:207], a[118:119], v[166:167], v[204:207]// 000000020054: D3D700CC 0F334D76
	v_mfma_i32_16x16x32_i8 v[204:207], a[120:121], v[168:169], v[204:207]// 00000002005C: D3D700CC 0F335178
	v_mfma_i32_16x16x32_i8 v[204:207], a[122:123], v[170:171], v[204:207]// 000000020064: D3D700CC 0F33557A
	v_mfma_i32_16x16x32_i8 v[204:207], a[124:125], v[172:173], v[204:207]// 00000002006C: D3D700CC 0F33597C
	v_mfma_i32_16x16x32_i8 v[204:207], a[126:127], v[174:175], v[204:207]// 000000020074: D3D700CC 0F335D7E
	v_add_u32_e32 v1, s56, v1                                  // 00000002007C: 68020238
	s_addk_i32 s70, 0x100                                      // 000000020080: B7460100
	s_cmp_lt_i32 s70, s71                                      // 000000020084: BF044746
	s_cbranch_scc0 label_77A4                                  // 000000020088: BF840001
	s_branch label_65C7                                        // 00000002008C: BF82EE23

0000000000020090 <label_77A4>:
	s_nop 0                                                    // 000000020090: BF800000
	s_nop 0                                                    // 000000020094: BF800000
	s_branch label_8984                                        // 000000020098: BF8211DD

000000000002009c <label_77A7>:
	s_waitcnt vmcnt(8) lgkmcnt(0)                              // 00000002009C: BF8C0078
	v_mul_u32_u24_dpp v64, v17, v54 row_newbcast:0 row_mask:0xf bank_mask:0xf// 0000000200A0: 10806CFA FF015011
	v_mul_u32_u24_dpp v65, v17, v54 row_newbcast:4 row_mask:0xf bank_mask:0xf// 0000000200A8: 10826CFA FF015411
	v_mul_u32_u24_dpp v66, v17, v54 row_newbcast:8 row_mask:0xf bank_mask:0xf// 0000000200B0: 10846CFA FF015811
	v_mul_u32_u24_dpp v67, v17, v54 row_newbcast:12 row_mask:0xf bank_mask:0xf// 0000000200B8: 10866CFA FF015C11
	v_add_u32_e32 v26, v64, v5                                 // 0000000200C0: 68340B40
	v_add_u32_e32 v27, v65, v5                                 // 0000000200C4: 68360B41
	v_add_u32_e32 v28, v66, v5                                 // 0000000200C8: 68380B42
	v_add_u32_e32 v29, v67, v5                                 // 0000000200CC: 683A0B43
	v_mul_u32_u24_dpp v64, v17, v63 quad_perm:[0,0,0,0] row_mask:0xf bank_mask:0xf// 0000000200D0: 10807EFA FF000011
	v_add_u32_e32 v3, v64, v59                                 // 0000000200D8: 68067740
	v_mul_u32_u24_dpp v64, v17, v63 quad_perm:[0,0,0,0] row_mask:0xf bank_mask:0xf// 0000000200DC: 10807EFA FF000011
	v_add_u32_e32 v56, v64, v60                                // 0000000200E4: 68707940
	v_mfma_i32_16x16x32_i8 v[112:115], a[0:1], v[80:81], 0     // 0000000200E8: D3D70070 0A02A100
	buffer_load_dwordx4 a[32:35], v26, s[16:19], 0 offen       // 0000000200F0: E05C1000 8084201A
	v_mfma_i32_16x16x32_i8 v[112:115], a[2:3], v[82:83], v[112:115]// 0000000200F8: D3D70070 0DC2A502
	v_mfma_i32_16x16x32_i8 v[112:115], a[4:5], v[84:85], v[112:115]// 000000020100: D3D70070 0DC2A904
	buffer_load_dword v16, v1, s[24:27], 0 offen               // 000000020108: E0501000 80061001
	v_mfma_i32_16x16x32_i8 v[112:115], a[6:7], v[86:87], v[112:115]// 000000020110: D3D70070 0DC2AD06
	v_mfma_i32_16x16x32_i8 v[116:119], a[8:9], v[80:81], 0     // 000000020118: D3D70074 0A02A108
	buffer_load_dwordx4 a[36:39], v26, s[16:19], 0 offen offset:1024// 000000020120: E05C1400 8084241A
	v_mfma_i32_16x16x32_i8 v[116:119], a[10:11], v[82:83], v[116:119]// 000000020128: D3D70074 0DD2A50A
	v_mfma_i32_16x16x32_i8 v[116:119], a[12:13], v[84:85], v[116:119]// 000000020130: D3D70074 0DD2A90C
	v_mfma_i32_16x16x32_i8 v[116:119], a[14:15], v[86:87], v[116:119]// 000000020138: D3D70074 0DD2AD0E
	v_mfma_i32_16x16x32_i8 v[120:123], a[16:17], v[80:81], 0   // 000000020140: D3D70078 0A02A110
	buffer_load_dwordx4 a[40:43], v27, s[16:19], 0 offen       // 000000020148: E05C1000 8084281B
	v_mfma_i32_16x16x32_i8 v[120:123], a[18:19], v[82:83], v[120:123]// 000000020150: D3D70078 0DE2A512
	v_mfma_i32_16x16x32_i8 v[120:123], a[20:21], v[84:85], v[120:123]// 000000020158: D3D70078 0DE2A914
	v_mfma_i32_16x16x32_i8 v[120:123], a[22:23], v[86:87], v[120:123]// 000000020160: D3D70078 0DE2AD16
	v_mfma_i32_16x16x32_i8 v[124:127], a[24:25], v[80:81], 0   // 000000020168: D3D7007C 0A02A118
	buffer_load_dwordx4 a[44:47], v27, s[16:19], 0 offen offset:1024// 000000020170: E05C1400 80842C1B
	v_mfma_i32_16x16x32_i8 v[124:127], a[26:27], v[82:83], v[124:127]// 000000020178: D3D7007C 0DF2A51A
	v_mfma_i32_16x16x32_i8 v[124:127], a[28:29], v[84:85], v[124:127]// 000000020180: D3D7007C 0DF2A91C
	v_mfma_i32_16x16x32_i8 v[124:127], a[30:31], v[86:87], v[124:127]// 000000020188: D3D7007C 0DF2AD1E
	v_mfma_i32_16x16x32_i8 v[128:131], a[0:1], v[88:89], 0     // 000000020190: D3D70080 0A02B100
	v_mfma_i32_16x16x32_i8 v[128:131], a[2:3], v[90:91], v[128:131]// 000000020198: D3D70080 0E02B502
	v_mfma_i32_16x16x32_i8 v[128:131], a[4:5], v[92:93], v[128:131]// 0000000201A0: D3D70080 0E02B904
	v_mfma_i32_16x16x32_i8 v[128:131], a[6:7], v[94:95], v[128:131]// 0000000201A8: D3D70080 0E02BD06
	v_mfma_i32_16x16x32_i8 v[132:135], a[8:9], v[88:89], 0     // 0000000201B0: D3D70084 0A02B108
	v_mfma_i32_16x16x32_i8 v[132:135], a[10:11], v[90:91], v[132:135]// 0000000201B8: D3D70084 0E12B50A
	v_mfma_i32_16x16x32_i8 v[132:135], a[12:13], v[92:93], v[132:135]// 0000000201C0: D3D70084 0E12B90C
	v_mfma_i32_16x16x32_i8 v[132:135], a[14:15], v[94:95], v[132:135]// 0000000201C8: D3D70084 0E12BD0E
	v_mfma_i32_16x16x32_i8 v[136:139], a[16:17], v[88:89], 0   // 0000000201D0: D3D70088 0A02B110
	v_mfma_i32_16x16x32_i8 v[136:139], a[18:19], v[90:91], v[136:139]// 0000000201D8: D3D70088 0E22B512
	v_mfma_i32_16x16x32_i8 v[136:139], a[20:21], v[92:93], v[136:139]// 0000000201E0: D3D70088 0E22B914
	v_mfma_i32_16x16x32_i8 v[136:139], a[22:23], v[94:95], v[136:139]// 0000000201E8: D3D70088 0E22BD16
	v_mfma_i32_16x16x32_i8 v[140:143], a[24:25], v[88:89], 0   // 0000000201F0: D3D7008C 0A02B118
	v_mfma_i32_16x16x32_i8 v[140:143], a[26:27], v[90:91], v[140:143]// 0000000201F8: D3D7008C 0E32B51A
	v_mfma_i32_16x16x32_i8 v[140:143], a[28:29], v[92:93], v[140:143]// 000000020200: D3D7008C 0E32B91C
	v_mfma_i32_16x16x32_i8 v[140:143], a[30:31], v[94:95], v[140:143]// 000000020208: D3D7008C 0E32BD1E
	v_mfma_i32_16x16x32_i8 v[144:147], a[0:1], v[96:97], 0     // 000000020210: D3D70090 0A02C100
	v_mfma_i32_16x16x32_i8 v[144:147], a[2:3], v[98:99], v[144:147]// 000000020218: D3D70090 0E42C502
	v_mfma_i32_16x16x32_i8 v[144:147], a[4:5], v[100:101], v[144:147]// 000000020220: D3D70090 0E42C904
	v_mfma_i32_16x16x32_i8 v[144:147], a[6:7], v[102:103], v[144:147]// 000000020228: D3D70090 0E42CD06
	v_mfma_i32_16x16x32_i8 v[148:151], a[8:9], v[96:97], 0     // 000000020230: D3D70094 0A02C108
	v_mfma_i32_16x16x32_i8 v[148:151], a[10:11], v[98:99], v[148:151]// 000000020238: D3D70094 0E52C50A
	v_mfma_i32_16x16x32_i8 v[148:151], a[12:13], v[100:101], v[148:151]// 000000020240: D3D70094 0E52C90C
	v_mfma_i32_16x16x32_i8 v[148:151], a[14:15], v[102:103], v[148:151]// 000000020248: D3D70094 0E52CD0E
	v_mfma_i32_16x16x32_i8 v[152:155], a[16:17], v[96:97], 0   // 000000020250: D3D70098 0A02C110
	v_mfma_i32_16x16x32_i8 v[152:155], a[18:19], v[98:99], v[152:155]// 000000020258: D3D70098 0E62C512
	v_mfma_i32_16x16x32_i8 v[152:155], a[20:21], v[100:101], v[152:155]// 000000020260: D3D70098 0E62C914
	v_mfma_i32_16x16x32_i8 v[152:155], a[22:23], v[102:103], v[152:155]// 000000020268: D3D70098 0E62CD16
	v_mfma_i32_16x16x32_i8 v[156:159], a[24:25], v[96:97], 0   // 000000020270: D3D7009C 0A02C118
	v_mfma_i32_16x16x32_i8 v[156:159], a[26:27], v[98:99], v[156:159]// 000000020278: D3D7009C 0E72C51A
	v_mfma_i32_16x16x32_i8 v[156:159], a[28:29], v[100:101], v[156:159]// 000000020280: D3D7009C 0E72C91C
	v_mfma_i32_16x16x32_i8 v[156:159], a[30:31], v[102:103], v[156:159]// 000000020288: D3D7009C 0E72CD1E
	v_mfma_i32_16x16x32_i8 v[160:163], a[0:1], v[104:105], 0   // 000000020290: D3D700A0 0A02D100
	v_mfma_i32_16x16x32_i8 v[160:163], a[2:3], v[106:107], v[160:163]// 000000020298: D3D700A0 0E82D502
	v_mfma_i32_16x16x32_i8 v[160:163], a[4:5], v[108:109], v[160:163]// 0000000202A0: D3D700A0 0E82D904
	v_mfma_i32_16x16x32_i8 v[160:163], a[6:7], v[110:111], v[160:163]// 0000000202A8: D3D700A0 0E82DD06
	v_mfma_i32_16x16x32_i8 v[164:167], a[8:9], v[104:105], 0   // 0000000202B0: D3D700A4 0A02D108
	v_mfma_i32_16x16x32_i8 v[164:167], a[10:11], v[106:107], v[164:167]// 0000000202B8: D3D700A4 0E92D50A
	v_mfma_i32_16x16x32_i8 v[164:167], a[12:13], v[108:109], v[164:167]// 0000000202C0: D3D700A4 0E92D90C
	v_mfma_i32_16x16x32_i8 v[164:167], a[14:15], v[110:111], v[164:167]// 0000000202C8: D3D700A4 0E92DD0E
	v_mfma_i32_16x16x32_i8 v[168:171], a[16:17], v[104:105], 0 // 0000000202D0: D3D700A8 0A02D110
	v_mfma_i32_16x16x32_i8 v[168:171], a[18:19], v[106:107], v[168:171]// 0000000202D8: D3D700A8 0EA2D512
	v_mfma_i32_16x16x32_i8 v[168:171], a[20:21], v[108:109], v[168:171]// 0000000202E0: D3D700A8 0EA2D914
	v_mfma_i32_16x16x32_i8 v[168:171], a[22:23], v[110:111], v[168:171]// 0000000202E8: D3D700A8 0EA2DD16
	v_mfma_i32_16x16x32_i8 v[172:175], a[24:25], v[104:105], 0 // 0000000202F0: D3D700AC 0A02D118
	v_mfma_i32_16x16x32_i8 v[172:175], a[26:27], v[106:107], v[172:175]// 0000000202F8: D3D700AC 0EB2D51A
	v_mfma_i32_16x16x32_i8 v[172:175], a[28:29], v[108:109], v[172:175]// 000000020300: D3D700AC 0EB2D91C
	v_mfma_i32_16x16x32_i8 v[172:175], a[30:31], v[110:111], v[172:175]// 000000020308: D3D700AC 0EB2DD1E
	buffer_load_dword v43, v3, s[32:35], 0 offen               // 000000020310: E0501000 80082B03
	v_mov_b32_dpp v64, v42 row_shr:4 row_mask:0xf bank_mask:0xf// 000000020318: 7E8002FA FF01142A
	v_mov_b32_dpp v65, v42 row_shl:4 row_mask:0xf bank_mask:0xf// 000000020320: 7E8202FA FF01042A
	v_cndmask_b32_e64 v248, v42, v64, s[44:45]                 // 000000020328: D10000F8 00B2812A
	v_cndmask_b32_e64 v249, v65, v42, s[44:45]                 // 000000020330: D10000F9 00B25541
	v_mov_b32_dpp v64, v248 row_shr:8 row_mask:0xf bank_mask:0xf// 000000020338: 7E8002FA FF0118F8
	v_mov_b32_dpp v65, v248 row_shl:8 row_mask:0xf bank_mask:0xf// 000000020340: 7E8202FA FF0108F8
	v_mov_b32_dpp v66, v249 row_shr:8 row_mask:0xf bank_mask:0xf// 000000020348: 7E8402FA FF0118F9
	v_mov_b32_dpp v67, v249 row_shl:8 row_mask:0xf bank_mask:0xf// 000000020350: 7E8602FA FF0108F9
	v_mov_b32_e32 v68, v248                                    // 000000020358: 7E8803F8
	v_mov_b32_e32 v69, v249                                    // 00000002035C: 7E8A03F9
	v_cndmask_b32_e64 v248, v68, v64, s[42:43]                 // 000000020360: D10000F8 00AA8144
	v_cndmask_b32_e64 v250, v68, v65, s[78:79]                 // 000000020368: D10000FA 013A8344
	v_cndmask_b32_e64 v249, v69, v66, s[42:43]                 // 000000020370: D10000F9 00AA8545
	v_cndmask_b32_e64 v251, v69, v67, s[78:79]                 // 000000020378: D10000FB 013A8745
	v_mov_b32_dpp v64, v57 row_shr:4 row_mask:0xf bank_mask:0xf// 000000020380: 7E8002FA FF011439
	v_mov_b32_dpp v65, v57 row_shl:4 row_mask:0xf bank_mask:0xf// 000000020388: 7E8202FA FF010439
	v_cndmask_b32_e64 v252, v57, v64, s[44:45]                 // 000000020390: D10000FC 00B28139
	v_cndmask_b32_e64 v253, v65, v57, s[44:45]                 // 000000020398: D10000FD 00B27341
	v_mov_b32_dpp v64, v252 row_shr:8 row_mask:0xf bank_mask:0xf// 0000000203A0: 7E8002FA FF0118FC
	v_mov_b32_dpp v65, v252 row_shl:8 row_mask:0xf bank_mask:0xf// 0000000203A8: 7E8202FA FF0108FC
	v_mov_b32_dpp v66, v253 row_shr:8 row_mask:0xf bank_mask:0xf// 0000000203B0: 7E8402FA FF0118FD
	v_mov_b32_dpp v67, v253 row_shl:8 row_mask:0xf bank_mask:0xf// 0000000203B8: 7E8602FA FF0108FD
	v_mov_b32_e32 v68, v252                                    // 0000000203C0: 7E8803FC
	v_mov_b32_e32 v69, v253                                    // 0000000203C4: 7E8A03FD
	v_cndmask_b32_e64 v252, v68, v64, s[42:43]                 // 0000000203C8: D10000FC 00AA8144
	v_cndmask_b32_e64 v254, v68, v65, s[78:79]                 // 0000000203D0: D10000FE 013A8344
	v_cndmask_b32_e64 v253, v69, v66, s[42:43]                 // 0000000203D8: D10000FD 00AA8545
	v_cndmask_b32_e64 v255, v69, v67, s[78:79]                 // 0000000203E0: D10000FF 013A8745
	buffer_load_dword v58, v56, s[36:39], 0 offen              // 0000000203E8: E0501000 80093A38
	v_cvt_f32_i32_e32 v112, v112                               // 0000000203F0: 7EE00B70
	v_cvt_f32_i32_e32 v113, v113                               // 0000000203F4: 7EE20B71
	v_cvt_f32_i32_e32 v114, v114                               // 0000000203F8: 7EE40B72
	v_cvt_f32_i32_e32 v115, v115                               // 0000000203FC: 7EE60B73
	v_cvt_f32_i32_e32 v116, v116                               // 000000020400: 7EE80B74
	v_cvt_f32_i32_e32 v117, v117                               // 000000020404: 7EEA0B75
	v_cvt_f32_i32_e32 v118, v118                               // 000000020408: 7EEC0B76
	v_cvt_f32_i32_e32 v119, v119                               // 00000002040C: 7EEE0B77
	v_cvt_f32_i32_e32 v120, v120                               // 000000020410: 7EF00B78
	v_cvt_f32_i32_e32 v121, v121                               // 000000020414: 7EF20B79
	v_cvt_f32_i32_e32 v122, v122                               // 000000020418: 7EF40B7A
	v_cvt_f32_i32_e32 v123, v123                               // 00000002041C: 7EF60B7B
	v_cvt_f32_i32_e32 v124, v124                               // 000000020420: 7EF80B7C
	v_cvt_f32_i32_e32 v125, v125                               // 000000020424: 7EFA0B7D
	v_cvt_f32_i32_e32 v126, v126                               // 000000020428: 7EFC0B7E
	v_cvt_f32_i32_e32 v127, v127                               // 00000002042C: 7EFE0B7F
	v_mul_f32_e32 v112, v18, v112                              // 000000020430: 0AE0E112
	v_mul_f32_e32 v113, v18, v113                              // 000000020434: 0AE2E312
	v_mul_f32_e32 v114, v18, v114                              // 000000020438: 0AE4E512
	v_mul_f32_e32 v115, v18, v115                              // 00000002043C: 0AE6E712
	v_mul_f32_e32 v116, v18, v116                              // 000000020440: 0AE8E912
	v_mul_f32_e32 v117, v18, v117                              // 000000020444: 0AEAEB12
	v_mul_f32_e32 v118, v18, v118                              // 000000020448: 0AECED12
	v_mul_f32_e32 v119, v18, v119                              // 00000002044C: 0AEEEF12
	v_mul_f32_e32 v120, v18, v120                              // 000000020450: 0AF0F112
	v_mul_f32_e32 v121, v18, v121                              // 000000020454: 0AF2F312
	v_mul_f32_e32 v122, v18, v122                              // 000000020458: 0AF4F512
	v_mul_f32_e32 v123, v18, v123                              // 00000002045C: 0AF6F712
	v_mul_f32_e32 v124, v18, v124                              // 000000020460: 0AF8F912
	v_mul_f32_e32 v125, v18, v125                              // 000000020464: 0AFAFB12
	v_mul_f32_e32 v126, v18, v126                              // 000000020468: 0AFCFD12
	v_mul_f32_e32 v127, v18, v127                              // 00000002046C: 0AFEFF12
	buffer_load_dwordx4 a[48:51], v28, s[16:19], 0 offen       // 000000020470: E05C1000 8084301C
	v_mul_f32_dpp v112, v248, v112 quad_perm:[0,0,0,0] row_mask:0xf bank_mask:0xf// 000000020478: 0AE0E0FA FF0000F8
	v_mul_f32_dpp v113, v248, v113 quad_perm:[1,1,1,1] row_mask:0xf bank_mask:0xf// 000000020480: 0AE2E2FA FF0055F8
	v_mul_f32_dpp v114, v248, v114 quad_perm:[2,2,2,2] row_mask:0xf bank_mask:0xf// 000000020488: 0AE4E4FA FF00AAF8
	v_mul_f32_dpp v115, v248, v115 quad_perm:[3,3,3,3] row_mask:0xf bank_mask:0xf// 000000020490: 0AE6E6FA FF00FFF8
	v_mul_f32_dpp v116, v249, v116 quad_perm:[0,0,0,0] row_mask:0xf bank_mask:0xf// 000000020498: 0AE8E8FA FF0000F9
	v_mul_f32_dpp v117, v249, v117 quad_perm:[1,1,1,1] row_mask:0xf bank_mask:0xf// 0000000204A0: 0AEAEAFA FF0055F9
	v_mul_f32_dpp v118, v249, v118 quad_perm:[2,2,2,2] row_mask:0xf bank_mask:0xf// 0000000204A8: 0AECECFA FF00AAF9
	v_mul_f32_dpp v119, v249, v119 quad_perm:[3,3,3,3] row_mask:0xf bank_mask:0xf// 0000000204B0: 0AEEEEFA FF00FFF9
	v_mul_f32_dpp v120, v250, v120 quad_perm:[0,0,0,0] row_mask:0xf bank_mask:0xf// 0000000204B8: 0AF0F0FA FF0000FA
	v_mul_f32_dpp v121, v250, v121 quad_perm:[1,1,1,1] row_mask:0xf bank_mask:0xf// 0000000204C0: 0AF2F2FA FF0055FA
	v_mul_f32_dpp v122, v250, v122 quad_perm:[2,2,2,2] row_mask:0xf bank_mask:0xf// 0000000204C8: 0AF4F4FA FF00AAFA
	v_mul_f32_dpp v123, v250, v123 quad_perm:[3,3,3,3] row_mask:0xf bank_mask:0xf// 0000000204D0: 0AF6F6FA FF00FFFA
	v_mul_f32_dpp v124, v251, v124 quad_perm:[0,0,0,0] row_mask:0xf bank_mask:0xf// 0000000204D8: 0AF8F8FA FF0000FB
	v_mul_f32_dpp v125, v251, v125 quad_perm:[1,1,1,1] row_mask:0xf bank_mask:0xf// 0000000204E0: 0AFAFAFA FF0055FB
	v_mul_f32_dpp v126, v251, v126 quad_perm:[2,2,2,2] row_mask:0xf bank_mask:0xf// 0000000204E8: 0AFCFCFA FF00AAFB
	v_mul_f32_dpp v127, v251, v127 quad_perm:[3,3,3,3] row_mask:0xf bank_mask:0xf// 0000000204F0: 0AFEFEFA FF00FFFB
	buffer_load_dwordx4 a[52:55], v28, s[16:19], 0 offen offset:1024// 0000000204F8: E05C1400 8084341C
	v_mov_b32_e32 v48, v112                                    // 000000020500: 7E600370
	v_max3_f32 v48, v112, v113, v48                            // 000000020504: D1D30030 04C2E370
	v_max3_f32 v48, v114, v115, v48                            // 00000002050C: D1D30030 04C2E772
	v_max3_f32 v48, v116, v117, v48                            // 000000020514: D1D30030 04C2EB74
	v_max3_f32 v48, v118, v119, v48                            // 00000002051C: D1D30030 04C2EF76
	v_max3_f32 v48, v120, v121, v48                            // 000000020524: D1D30030 04C2F378
	v_max3_f32 v48, v122, v123, v48                            // 00000002052C: D1D30030 04C2F77A
	v_max3_f32 v48, v124, v125, v48                            // 000000020534: D1D30030 04C2FB7C
	v_max3_f32 v48, v126, v127, v48                            // 00000002053C: D1D30030 04C2FF7E
	ds_write_b32 v8, v48 offset:16896                          // 000000020544: D81A4200 00003008
	buffer_load_dwordx4 a[56:59], v29, s[16:19], 0 offen       // 00000002054C: E05C1000 8084381D
	v_mul_u32_u24_dpp v64, v17, v54 row_newbcast:1 row_mask:0xf bank_mask:0xf// 000000020554: 10806CFA FF015111
	v_mul_u32_u24_dpp v65, v17, v54 row_newbcast:5 row_mask:0xf bank_mask:0xf// 00000002055C: 10826CFA FF015511
	v_mul_u32_u24_dpp v66, v17, v54 row_newbcast:9 row_mask:0xf bank_mask:0xf// 000000020564: 10846CFA FF015911
	v_mul_u32_u24_dpp v67, v17, v54 row_newbcast:13 row_mask:0xf bank_mask:0xf// 00000002056C: 10866CFA FF015D11
	v_add_u32_e32 v34, v64, v6                                 // 000000020574: 68440D40
	v_add_u32_e32 v35, v65, v6                                 // 000000020578: 68460D41
	v_add_u32_e32 v36, v66, v6                                 // 00000002057C: 68480D42
	v_add_u32_e32 v37, v67, v6                                 // 000000020580: 684A0D43
	v_mul_f32_e32 v208, v49, v208                              // 000000020584: 0BA1A131
	v_mul_f32_e32 v209, v49, v209                              // 000000020588: 0BA3A331
	v_mul_f32_e32 v210, v49, v210                              // 00000002058C: 0BA5A531
	v_mul_f32_e32 v211, v49, v211                              // 000000020590: 0BA7A731
	v_mul_f32_e32 v212, v49, v212                              // 000000020594: 0BA9A931
	v_mul_f32_e32 v213, v49, v213                              // 000000020598: 0BABAB31
	v_mul_f32_e32 v214, v49, v214                              // 00000002059C: 0BADAD31
	v_mul_f32_e32 v215, v49, v215                              // 0000000205A0: 0BAFAF31
	s_waitcnt lgkmcnt(0)                                       // 0000000205A4: BF8CC07F
	s_barrier                                                  // 0000000205A8: BF8A0000
	ds_read_b32 v64, v7 offset:16896                           // 0000000205AC: D86C4200 40000007
	ds_read_b32 v65, v7 offset:16960                           // 0000000205B4: D86C4240 41000007
	ds_read_b32 v66, v7 offset:17024                           // 0000000205BC: D86C4280 42000007
	ds_read_b32 v67, v7 offset:17088                           // 0000000205C4: D86C42C0 43000007
	ds_read_b32 v68, v7 offset:17152                           // 0000000205CC: D86C4300 44000007
	ds_read_b32 v69, v7 offset:17216                           // 0000000205D4: D86C4340 45000007
	ds_read_b32 v70, v7 offset:17280                           // 0000000205DC: D86C4380 46000007
	ds_read_b32 v71, v7 offset:17344                           // 0000000205E4: D86C43C0 47000007
	ds_read_b32 v72, v7 offset:17408                           // 0000000205EC: D86C4400 48000007
	ds_read_b32 v73, v7 offset:17472                           // 0000000205F4: D86C4440 49000007
	ds_read_b32 v74, v7 offset:17536                           // 0000000205FC: D86C4480 4A000007
	ds_read_b32 v75, v7 offset:17600                           // 000000020604: D86C44C0 4B000007
	ds_read_b32 v76, v7 offset:17664                           // 00000002060C: D86C4500 4C000007
	ds_read_b32 v77, v7 offset:17728                           // 000000020614: D86C4540 4D000007
	ds_read_b32 v78, v7 offset:17792                           // 00000002061C: D86C4580 4E000007
	ds_read_b32 v79, v7 offset:17856                           // 000000020624: D86C45C0 4F000007
	buffer_load_dwordx4 a[60:63], v29, s[16:19], 0 offen offset:1024// 00000002062C: E05C1400 80843C1D
	v_cvt_f32_i32_e32 v176, v176                               // 000000020634: 7F600BB0
	v_cvt_f32_i32_e32 v177, v177                               // 000000020638: 7F620BB1
	v_cvt_f32_i32_e32 v178, v178                               // 00000002063C: 7F640BB2
	v_cvt_f32_i32_e32 v179, v179                               // 000000020640: 7F660BB3
	v_cvt_f32_i32_e32 v180, v180                               // 000000020644: 7F680BB4
	v_cvt_f32_i32_e32 v181, v181                               // 000000020648: 7F6A0BB5
	v_cvt_f32_i32_e32 v182, v182                               // 00000002064C: 7F6C0BB6
	v_cvt_f32_i32_e32 v183, v183                               // 000000020650: 7F6E0BB7
	v_mul_f32_e32 v176, v44, v176                              // 000000020654: 0B61612C
	v_mul_f32_e32 v177, v44, v177                              // 000000020658: 0B63632C
	v_mul_f32_e32 v178, v44, v178                              // 00000002065C: 0B65652C
	v_mul_f32_e32 v179, v44, v179                              // 000000020660: 0B67672C
	v_mul_f32_e32 v180, v44, v180                              // 000000020664: 0B69692C
	v_mul_f32_e32 v181, v44, v181                              // 000000020668: 0B6B6B2C
	v_mul_f32_e32 v182, v44, v182                              // 00000002066C: 0B6D6D2C
	v_mul_f32_e32 v183, v44, v183                              // 000000020670: 0B6F6F2C
	s_waitcnt lgkmcnt(0)                                       // 000000020674: BF8CC07F
	v_max3_f32 v48, v64, v65, v48                              // 000000020678: D1D30030 04C28340
	v_max3_f32 v48, v66, v67, v48                              // 000000020680: D1D30030 04C28742
	v_max3_f32 v48, v68, v69, v48                              // 000000020688: D1D30030 04C28B44
	v_max3_f32 v48, v70, v71, v48                              // 000000020690: D1D30030 04C28F46
	v_max3_f32 v48, v72, v73, v48                              // 000000020698: D1D30030 04C29348
	v_max3_f32 v48, v74, v75, v48                              // 0000000206A0: D1D30030 04C2974A
	v_max3_f32 v48, v76, v77, v48                              // 0000000206A8: D1D30030 04C29B4C
	v_max3_f32 v48, v78, v79, v48                              // 0000000206B0: D1D30030 04C29F4E
	buffer_load_dwordx4 a[96:99], v34, s[20:23], 0 offen       // 0000000206B8: E05C1000 80856022
	v_mov_b32_e32 v64, 0xff800000                              // 0000000206C0: 7E8002FF FF800000
	v_cmp_eq_u32_e64 s[40:41], v64, v11                        // 0000000206C8: D0CA0028 00021740
	s_nop 1                                                    // 0000000206D0: BF800001
	v_max_f32_e32 v15, v48, v11                                // 0000000206D4: 161E1730
	v_mul_f32_e32 v53, s64, v15                                // 0000000206D8: 0A6A1E40
	v_fma_f32 v112, v112, s64, -v53                            // 0000000206DC: D1CB0070 84D48170
	v_fma_f32 v113, v113, s64, -v53                            // 0000000206E4: D1CB0071 84D48171
	v_fma_f32 v114, v114, s64, -v53                            // 0000000206EC: D1CB0072 84D48172
	v_fma_f32 v115, v115, s64, -v53                            // 0000000206F4: D1CB0073 84D48173
	v_fma_f32 v116, v116, s64, -v53                            // 0000000206FC: D1CB0074 84D48174
	v_fma_f32 v117, v117, s64, -v53                            // 000000020704: D1CB0075 84D48175
	v_fma_f32 v118, v118, s64, -v53                            // 00000002070C: D1CB0076 84D48176
	v_fma_f32 v119, v119, s64, -v53                            // 000000020714: D1CB0077 84D48177
	v_fma_f32 v120, v120, s64, -v53                            // 00000002071C: D1CB0078 84D48178
	v_fma_f32 v121, v121, s64, -v53                            // 000000020724: D1CB0079 84D48179
	v_fma_f32 v122, v122, s64, -v53                            // 00000002072C: D1CB007A 84D4817A
	v_fma_f32 v123, v123, s64, -v53                            // 000000020734: D1CB007B 84D4817B
	v_fma_f32 v124, v124, s64, -v53                            // 00000002073C: D1CB007C 84D4817C
	v_fma_f32 v125, v125, s64, -v53                            // 000000020744: D1CB007D 84D4817D
	v_fma_f32 v126, v126, s64, -v53                            // 00000002074C: D1CB007E 84D4817E
	v_fma_f32 v127, v127, s64, -v53                            // 000000020754: D1CB007F 84D4817F
	buffer_load_dwordx4 a[100:103], v35, s[20:23], 0 offen     // 00000002075C: E05C1000 80856423
	v_exp_f32_e32 v112, v112                                   // 000000020764: 7EE04170
	v_exp_f32_e32 v113, v113                                   // 000000020768: 7EE24171
	v_exp_f32_e32 v114, v114                                   // 00000002076C: 7EE44172
	v_exp_f32_e32 v115, v115                                   // 000000020770: 7EE64173
	v_exp_f32_e32 v116, v116                                   // 000000020774: 7EE84174
	v_exp_f32_e32 v117, v117                                   // 000000020778: 7EEA4175
	v_exp_f32_e32 v118, v118                                   // 00000002077C: 7EEC4176
	v_exp_f32_e32 v119, v119                                   // 000000020780: 7EEE4177
	v_exp_f32_e32 v120, v120                                   // 000000020784: 7EF04178
	v_exp_f32_e32 v121, v121                                   // 000000020788: 7EF24179
	v_exp_f32_e32 v122, v122                                   // 00000002078C: 7EF4417A
	v_exp_f32_e32 v123, v123                                   // 000000020790: 7EF6417B
	v_exp_f32_e32 v124, v124                                   // 000000020794: 7EF8417C
	v_exp_f32_e32 v125, v125                                   // 000000020798: 7EFA417D
	v_exp_f32_e32 v126, v126                                   // 00000002079C: 7EFC417E
	v_exp_f32_e32 v127, v127                                   // 0000000207A0: 7EFE417F
	buffer_load_dwordx4 a[104:107], v36, s[20:23], 0 offen     // 0000000207A4: E05C1000 80856824
	v_mul_f32_dpp v240, v252, v112 quad_perm:[0,0,0,0] row_mask:0xf bank_mask:0xf// 0000000207AC: 0BE0E0FA FF0000FC
	v_mul_f32_dpp v241, v252, v113 quad_perm:[1,1,1,1] row_mask:0xf bank_mask:0xf// 0000000207B4: 0BE2E2FA FF0055FC
	v_mul_f32_dpp v242, v252, v114 quad_perm:[2,2,2,2] row_mask:0xf bank_mask:0xf// 0000000207BC: 0BE4E4FA FF00AAFC
	v_mul_f32_dpp v243, v252, v115 quad_perm:[3,3,3,3] row_mask:0xf bank_mask:0xf// 0000000207C4: 0BE6E6FA FF00FFFC
	v_mul_f32_dpp v244, v253, v116 quad_perm:[0,0,0,0] row_mask:0xf bank_mask:0xf// 0000000207CC: 0BE8E8FA FF0000FD
	v_mul_f32_dpp v245, v253, v117 quad_perm:[1,1,1,1] row_mask:0xf bank_mask:0xf// 0000000207D4: 0BEAEAFA FF0055FD
	v_mul_f32_dpp v246, v253, v118 quad_perm:[2,2,2,2] row_mask:0xf bank_mask:0xf// 0000000207DC: 0BECECFA FF00AAFD
	v_mul_f32_dpp v247, v253, v119 quad_perm:[3,3,3,3] row_mask:0xf bank_mask:0xf// 0000000207E4: 0BEEEEFA FF00FFFD
	v_mul_f32_dpp v248, v254, v120 quad_perm:[0,0,0,0] row_mask:0xf bank_mask:0xf// 0000000207EC: 0BF0F0FA FF0000FE
	v_mul_f32_dpp v249, v254, v121 quad_perm:[1,1,1,1] row_mask:0xf bank_mask:0xf// 0000000207F4: 0BF2F2FA FF0055FE
	v_mul_f32_dpp v250, v254, v122 quad_perm:[2,2,2,2] row_mask:0xf bank_mask:0xf// 0000000207FC: 0BF4F4FA FF00AAFE
	v_mul_f32_dpp v251, v254, v123 quad_perm:[3,3,3,3] row_mask:0xf bank_mask:0xf// 000000020804: 0BF6F6FA FF00FFFE
	v_mul_f32_dpp v252, v255, v124 quad_perm:[0,0,0,0] row_mask:0xf bank_mask:0xf// 00000002080C: 0BF8F8FA FF0000FF
	v_mul_f32_dpp v253, v255, v125 quad_perm:[1,1,1,1] row_mask:0xf bank_mask:0xf// 000000020814: 0BFAFAFA FF0055FF
	v_mul_f32_dpp v254, v255, v126 quad_perm:[2,2,2,2] row_mask:0xf bank_mask:0xf// 00000002081C: 0BFCFCFA FF00AAFF
	v_mul_f32_dpp v255, v255, v127 quad_perm:[3,3,3,3] row_mask:0xf bank_mask:0xf// 000000020824: 0BFEFEFA FF00FFFF
	v_mov_b32_e32 v48, 0x358637bd                              // 00000002082C: 7E6002FF 358637BD
	v_max3_f32 v48, |v240|, |v241|, v48                        // 000000020834: D1D30330 04C3E3F0
	v_max3_f32 v48, |v242|, |v243|, v48                        // 00000002083C: D1D30330 04C3E7F2
	v_max3_f32 v48, |v244|, |v245|, v48                        // 000000020844: D1D30330 04C3EBF4
	v_max3_f32 v48, |v246|, |v247|, v48                        // 00000002084C: D1D30330 04C3EFF6
	v_max3_f32 v48, |v248|, |v249|, v48                        // 000000020854: D1D30330 04C3F3F8
	v_max3_f32 v48, |v250|, |v251|, v48                        // 00000002085C: D1D30330 04C3F7FA
	v_max3_f32 v48, |v252|, |v253|, v48                        // 000000020864: D1D30330 04C3FBFC
	v_max3_f32 v48, |v254|, |v255|, v48                        // 00000002086C: D1D30330 04C3FFFE
	buffer_load_dwordx4 a[108:111], v37, s[20:23], 0 offen     // 000000020874: E05C1000 80856C25
	ds_write_b32 v8, v48 offset:20992                          // 00000002087C: D81A5200 00003008
	v_sub_f32_e32 v49, v11, v15                                // 000000020884: 04621F0B
	v_cndmask_b32_e64 v49, v49, 0, s[40:41]                    // 000000020888: D1000031 00A10131
	v_mov_b32_e32 v11, v15                                     // 000000020890: 7E16030F
	v_mul_f32_e32 v49, s64, v49                                // 000000020894: 0A626240
	v_exp_f32_e32 v49, v49                                     // 000000020898: 7E624131
	s_waitcnt lgkmcnt(0)                                       // 00000002089C: BF8CC07F
	s_barrier                                                  // 0000000208A0: BF8A0000
	ds_read_b32 v64, v7 offset:20992                           // 0000000208A4: D86C5200 40000007
	ds_read_b32 v65, v7 offset:21056                           // 0000000208AC: D86C5240 41000007
	ds_read_b32 v66, v7 offset:21120                           // 0000000208B4: D86C5280 42000007
	ds_read_b32 v67, v7 offset:21184                           // 0000000208BC: D86C52C0 43000007
	ds_read_b32 v68, v7 offset:21248                           // 0000000208C4: D86C5300 44000007
	ds_read_b32 v69, v7 offset:21312                           // 0000000208CC: D86C5340 45000007
	ds_read_b32 v70, v7 offset:21376                           // 0000000208D4: D86C5380 46000007
	ds_read_b32 v71, v7 offset:21440                           // 0000000208DC: D86C53C0 47000007
	ds_read_b32 v72, v7 offset:21504                           // 0000000208E4: D86C5400 48000007
	ds_read_b32 v73, v7 offset:21568                           // 0000000208EC: D86C5440 49000007
	ds_read_b32 v74, v7 offset:21632                           // 0000000208F4: D86C5480 4A000007
	ds_read_b32 v75, v7 offset:21696                           // 0000000208FC: D86C54C0 4B000007
	ds_read_b32 v76, v7 offset:21760                           // 000000020904: D86C5500 4C000007
	ds_read_b32 v77, v7 offset:21824                           // 00000002090C: D86C5540 4D000007
	ds_read_b32 v78, v7 offset:21888                           // 000000020914: D86C5580 4E000007
	ds_read_b32 v79, v7 offset:21952                           // 00000002091C: D86C55C0 4F000007
	v_mul_f32_e32 v38, v49, v38                                // 000000020924: 0A4C4D31
	v_mov_b32_e32 v15, v112                                    // 000000020928: 7E1E0370
	v_add_f32_e32 v15, v113, v15                               // 00000002092C: 021E1F71
	v_add_f32_e32 v15, v114, v15                               // 000000020930: 021E1F72
	v_add_f32_e32 v15, v115, v15                               // 000000020934: 021E1F73
	v_add_f32_e32 v15, v116, v15                               // 000000020938: 021E1F74
	v_add_f32_e32 v15, v117, v15                               // 00000002093C: 021E1F75
	v_add_f32_e32 v15, v118, v15                               // 000000020940: 021E1F76
	v_add_f32_e32 v15, v119, v15                               // 000000020944: 021E1F77
	v_add_f32_e32 v15, v120, v15                               // 000000020948: 021E1F78
	v_add_f32_e32 v15, v121, v15                               // 00000002094C: 021E1F79
	v_add_f32_e32 v15, v122, v15                               // 000000020950: 021E1F7A
	v_add_f32_e32 v15, v123, v15                               // 000000020954: 021E1F7B
	v_add_f32_e32 v15, v124, v15                               // 000000020958: 021E1F7C
	v_add_f32_e32 v15, v125, v15                               // 00000002095C: 021E1F7D
	v_add_f32_e32 v15, v126, v15                               // 000000020960: 021E1F7E
	v_add_f32_e32 v15, v127, v15                               // 000000020964: 021E1F7F
	v_add_f32_e32 v38, v15, v38                                // 000000020968: 024C4D0F
	s_waitcnt lgkmcnt(0)                                       // 00000002096C: BF8CC07F
	v_max3_f32 v48, |v64|, |v65|, v48                          // 000000020970: D1D30330 04C28340
	v_max3_f32 v48, |v66|, |v67|, v48                          // 000000020978: D1D30330 04C28742
	v_max3_f32 v48, |v68|, |v69|, v48                          // 000000020980: D1D30330 04C28B44
	v_max3_f32 v48, |v70|, |v71|, v48                          // 000000020988: D1D30330 04C28F46
	v_max3_f32 v48, |v72|, |v73|, v48                          // 000000020990: D1D30330 04C29348
	v_max3_f32 v48, |v74|, |v75|, v48                          // 000000020998: D1D30330 04C2974A
	v_max3_f32 v48, |v76|, |v77|, v48                          // 0000000209A0: D1D30330 04C29B4C
	v_max3_f32 v48, |v78|, |v79|, v48                          // 0000000209A8: D1D30330 04C29F4E
	s_nop 2                                                    // 0000000209B0: BF800002
	v_rcp_f32_e32 v48, v48                                     // 0000000209B4: 7E604530
	s_nop 1                                                    // 0000000209B8: BF800001
	v_mul_f32_e32 v48, 0x42fe0000, v48                         // 0000000209BC: 0A6060FF 42FE0000
	v_mul_f32_e32 v112, v48, v240                              // 0000000209C4: 0AE1E130
	v_mul_f32_e32 v113, v48, v241                              // 0000000209C8: 0AE3E330
	v_mul_f32_e32 v114, v48, v242                              // 0000000209CC: 0AE5E530
	v_mul_f32_e32 v115, v48, v243                              // 0000000209D0: 0AE7E730
	v_mul_f32_e32 v116, v48, v244                              // 0000000209D4: 0AE9E930
	v_mul_f32_e32 v117, v48, v245                              // 0000000209D8: 0AEBEB30
	v_mul_f32_e32 v118, v48, v246                              // 0000000209DC: 0AEDED30
	v_mul_f32_e32 v119, v48, v247                              // 0000000209E0: 0AEFEF30
	v_mul_f32_e32 v120, v48, v248                              // 0000000209E4: 0AF1F130
	v_mul_f32_e32 v121, v48, v249                              // 0000000209E8: 0AF3F330
	v_mul_f32_e32 v122, v48, v250                              // 0000000209EC: 0AF5F530
	v_mul_f32_e32 v123, v48, v251                              // 0000000209F0: 0AF7F730
	v_mul_f32_e32 v124, v48, v252                              // 0000000209F4: 0AF9F930
	v_mul_f32_e32 v125, v48, v253                              // 0000000209F8: 0AFBFB30
	v_mul_f32_e32 v126, v48, v254                              // 0000000209FC: 0AFDFD30
	v_mul_f32_e32 v127, v48, v255                              // 000000020A00: 0AFFFF30
	v_cvt_i32_f32_e32 v112, v112                               // 000000020A04: 7EE01170
	v_cvt_i32_f32_e32 v113, v113                               // 000000020A08: 7EE21171
	v_cvt_i32_f32_e32 v114, v114                               // 000000020A0C: 7EE41172
	v_cvt_i32_f32_e32 v115, v115                               // 000000020A10: 7EE61173
	v_cvt_i32_f32_e32 v116, v116                               // 000000020A14: 7EE81174
	v_cvt_i32_f32_e32 v117, v117                               // 000000020A18: 7EEA1175
	v_cvt_i32_f32_e32 v118, v118                               // 000000020A1C: 7EEC1176
	v_cvt_i32_f32_e32 v119, v119                               // 000000020A20: 7EEE1177
	v_cvt_i32_f32_e32 v120, v120                               // 000000020A24: 7EF01178
	v_cvt_i32_f32_e32 v121, v121                               // 000000020A28: 7EF21179
	v_cvt_i32_f32_e32 v122, v122                               // 000000020A2C: 7EF4117A
	v_cvt_i32_f32_e32 v123, v123                               // 000000020A30: 7EF6117B
	v_cvt_i32_f32_e32 v124, v124                               // 000000020A34: 7EF8117C
	v_cvt_i32_f32_e32 v125, v125                               // 000000020A38: 7EFA117D
	v_cvt_i32_f32_e32 v126, v126                               // 000000020A3C: 7EFC117E
	v_cvt_i32_f32_e32 v127, v127                               // 000000020A40: 7EFE117F
	v_perm_b32 v112, v113, v112, s53                           // 000000020A44: D1ED0070 00D6E171
	v_perm_b32 v112, v114, v112, s54                           // 000000020A4C: D1ED0070 00DAE172
	v_perm_b32 v112, v115, v112, s55                           // 000000020A54: D1ED0070 00DEE173
	v_perm_b32 v113, v117, v116, s53                           // 000000020A5C: D1ED0071 00D6E975
	v_perm_b32 v113, v118, v113, s54                           // 000000020A64: D1ED0071 00DAE376
	v_perm_b32 v113, v119, v113, s55                           // 000000020A6C: D1ED0071 00DEE377
	v_perm_b32 v114, v121, v120, s53                           // 000000020A74: D1ED0072 00D6F179
	v_perm_b32 v114, v122, v114, s54                           // 000000020A7C: D1ED0072 00DAE57A
	v_perm_b32 v114, v123, v114, s55                           // 000000020A84: D1ED0072 00DEE57B
	v_perm_b32 v115, v125, v124, s53                           // 000000020A8C: D1ED0073 00D6F97D
	v_perm_b32 v115, v126, v115, s54                           // 000000020A94: D1ED0073 00DAE77E
	v_perm_b32 v115, v127, v115, s55                           // 000000020A9C: D1ED0073 00DEE77F
	ds_write_b32 v10, v112 offset:25088                        // 000000020AA4: D81A6200 0000700A
	ds_write_b32 v10, v113 offset:26112                        // 000000020AAC: D81A6600 0000710A
	ds_write_b32 v10, v114 offset:27136                        // 000000020AB4: D81A6A00 0000720A
	ds_write_b32 v10, v115 offset:28160                        // 000000020ABC: D81A6E00 0000730A
	v_add_f32_e32 v208, v208, v176                             // 000000020AC4: 03A161D0
	v_add_f32_e32 v209, v209, v177                             // 000000020AC8: 03A363D1
	v_add_f32_e32 v210, v210, v178                             // 000000020ACC: 03A565D2
	v_add_f32_e32 v211, v211, v179                             // 000000020AD0: 03A767D3
	v_add_f32_e32 v212, v212, v180                             // 000000020AD4: 03A969D4
	v_add_f32_e32 v213, v213, v181                             // 000000020AD8: 03AB6BD5
	v_add_f32_e32 v214, v214, v182                             // 000000020ADC: 03AD6DD6
	v_add_f32_e32 v215, v215, v183                             // 000000020AE0: 03AF6FD7
	v_rcp_f32_e32 v44, v48                                     // 000000020AE4: 7E584530
	s_waitcnt lgkmcnt(0)                                       // 000000020AE8: BF8CC07F
	s_barrier                                                  // 000000020AEC: BF8A0000
	ds_read_b64 v[112:113], v9 offset:25088                    // 000000020AF0: D8EC6200 70000009
	ds_read_b64 v[114:115], v9 offset:25216                    // 000000020AF8: D8EC6280 72000009
	ds_read_b64 v[116:117], v9 offset:26112                    // 000000020B00: D8EC6600 74000009
	ds_read_b64 v[118:119], v9 offset:26240                    // 000000020B08: D8EC6680 76000009
	ds_read_b64 v[120:121], v9 offset:27136                    // 000000020B10: D8EC6A00 78000009
	ds_read_b64 v[122:123], v9 offset:27264                    // 000000020B18: D8EC6A80 7A000009
	ds_read_b64 v[124:125], v9 offset:28160                    // 000000020B20: D8EC6E00 7C000009
	ds_read_b64 v[126:127], v9 offset:28288                    // 000000020B28: D8EC6E80 7E000009
	v_mov_b32_dpp v64, v42 row_shr:4 row_mask:0xf bank_mask:0xf// 000000020B30: 7E8002FA FF01142A
	v_mov_b32_dpp v65, v42 row_shl:4 row_mask:0xf bank_mask:0xf// 000000020B38: 7E8202FA FF01042A
	v_cndmask_b32_e64 v248, v42, v64, s[44:45]                 // 000000020B40: D10000F8 00B2812A
	v_cndmask_b32_e64 v249, v65, v42, s[44:45]                 // 000000020B48: D10000F9 00B25541
	v_mov_b32_dpp v64, v248 row_shr:8 row_mask:0xf bank_mask:0xf// 000000020B50: 7E8002FA FF0118F8
	v_mov_b32_dpp v65, v248 row_shl:8 row_mask:0xf bank_mask:0xf// 000000020B58: 7E8202FA FF0108F8
	v_mov_b32_dpp v66, v249 row_shr:8 row_mask:0xf bank_mask:0xf// 000000020B60: 7E8402FA FF0118F9
	v_mov_b32_dpp v67, v249 row_shl:8 row_mask:0xf bank_mask:0xf// 000000020B68: 7E8602FA FF0108F9
	v_mov_b32_e32 v68, v248                                    // 000000020B70: 7E8803F8
	v_mov_b32_e32 v69, v249                                    // 000000020B74: 7E8A03F9
	v_cndmask_b32_e64 v248, v68, v64, s[42:43]                 // 000000020B78: D10000F8 00AA8144
	v_cndmask_b32_e64 v250, v68, v65, s[78:79]                 // 000000020B80: D10000FA 013A8344
	v_cndmask_b32_e64 v249, v69, v66, s[42:43]                 // 000000020B88: D10000F9 00AA8545
	v_cndmask_b32_e64 v251, v69, v67, s[78:79]                 // 000000020B90: D10000FB 013A8745
	v_mov_b32_dpp v64, v57 row_shr:4 row_mask:0xf bank_mask:0xf// 000000020B98: 7E8002FA FF011439
	v_mov_b32_dpp v65, v57 row_shl:4 row_mask:0xf bank_mask:0xf// 000000020BA0: 7E8202FA FF010439
	v_cndmask_b32_e64 v252, v57, v64, s[44:45]                 // 000000020BA8: D10000FC 00B28139
	v_cndmask_b32_e64 v253, v65, v57, s[44:45]                 // 000000020BB0: D10000FD 00B27341
	v_mov_b32_dpp v64, v252 row_shr:8 row_mask:0xf bank_mask:0xf// 000000020BB8: 7E8002FA FF0118FC
	v_mov_b32_dpp v65, v252 row_shl:8 row_mask:0xf bank_mask:0xf// 000000020BC0: 7E8202FA FF0108FC
	v_mov_b32_dpp v66, v253 row_shr:8 row_mask:0xf bank_mask:0xf// 000000020BC8: 7E8402FA FF0118FD
	v_mov_b32_dpp v67, v253 row_shl:8 row_mask:0xf bank_mask:0xf// 000000020BD0: 7E8602FA FF0108FD
	v_mov_b32_e32 v68, v252                                    // 000000020BD8: 7E8803FC
	v_mov_b32_e32 v69, v253                                    // 000000020BDC: 7E8A03FD
	v_cndmask_b32_e64 v252, v68, v64, s[42:43]                 // 000000020BE0: D10000FC 00AA8144
	v_cndmask_b32_e64 v254, v68, v65, s[78:79]                 // 000000020BE8: D10000FE 013A8344
	v_cndmask_b32_e64 v253, v69, v66, s[42:43]                 // 000000020BF0: D10000FD 00AA8545
	v_cndmask_b32_e64 v255, v69, v67, s[78:79]                 // 000000020BF8: D10000FF 013A8745
	v_cvt_f32_i32_e32 v128, v128                               // 000000020C00: 7F000B80
	v_cvt_f32_i32_e32 v129, v129                               // 000000020C04: 7F020B81
	v_cvt_f32_i32_e32 v130, v130                               // 000000020C08: 7F040B82
	v_cvt_f32_i32_e32 v131, v131                               // 000000020C0C: 7F060B83
	v_cvt_f32_i32_e32 v132, v132                               // 000000020C10: 7F080B84
	v_cvt_f32_i32_e32 v133, v133                               // 000000020C14: 7F0A0B85
	v_cvt_f32_i32_e32 v134, v134                               // 000000020C18: 7F0C0B86
	v_cvt_f32_i32_e32 v135, v135                               // 000000020C1C: 7F0E0B87
	v_cvt_f32_i32_e32 v136, v136                               // 000000020C20: 7F100B88
	v_cvt_f32_i32_e32 v137, v137                               // 000000020C24: 7F120B89
	v_cvt_f32_i32_e32 v138, v138                               // 000000020C28: 7F140B8A
	v_cvt_f32_i32_e32 v139, v139                               // 000000020C2C: 7F160B8B
	v_cvt_f32_i32_e32 v140, v140                               // 000000020C30: 7F180B8C
	v_cvt_f32_i32_e32 v141, v141                               // 000000020C34: 7F1A0B8D
	v_cvt_f32_i32_e32 v142, v142                               // 000000020C38: 7F1C0B8E
	v_cvt_f32_i32_e32 v143, v143                               // 000000020C3C: 7F1E0B8F
	v_mul_f32_e32 v128, v19, v128                              // 000000020C40: 0B010113
	v_mul_f32_e32 v129, v19, v129                              // 000000020C44: 0B030313
	v_mul_f32_e32 v130, v19, v130                              // 000000020C48: 0B050513
	v_mul_f32_e32 v131, v19, v131                              // 000000020C4C: 0B070713
	v_mul_f32_e32 v132, v19, v132                              // 000000020C50: 0B090913
	v_mul_f32_e32 v133, v19, v133                              // 000000020C54: 0B0B0B13
	v_mul_f32_e32 v134, v19, v134                              // 000000020C58: 0B0D0D13
	v_mul_f32_e32 v135, v19, v135                              // 000000020C5C: 0B0F0F13
	v_mul_f32_e32 v136, v19, v136                              // 000000020C60: 0B111113
	v_mul_f32_e32 v137, v19, v137                              // 000000020C64: 0B131313
	v_mul_f32_e32 v138, v19, v138                              // 000000020C68: 0B151513
	v_mul_f32_e32 v139, v19, v139                              // 000000020C6C: 0B171713
	v_mul_f32_e32 v140, v19, v140                              // 000000020C70: 0B191913
	v_mul_f32_e32 v141, v19, v141                              // 000000020C74: 0B1B1B13
	v_mul_f32_e32 v142, v19, v142                              // 000000020C78: 0B1D1D13
	v_mul_f32_e32 v143, v19, v143                              // 000000020C7C: 0B1F1F13
	v_mul_f32_dpp v128, v248, v128 quad_perm:[0,0,0,0] row_mask:0xf bank_mask:0xf// 000000020C80: 0B0100FA FF0000F8
	v_mul_f32_dpp v129, v248, v129 quad_perm:[1,1,1,1] row_mask:0xf bank_mask:0xf// 000000020C88: 0B0302FA FF0055F8
	v_mul_f32_dpp v130, v248, v130 quad_perm:[2,2,2,2] row_mask:0xf bank_mask:0xf// 000000020C90: 0B0504FA FF00AAF8
	v_mul_f32_dpp v131, v248, v131 quad_perm:[3,3,3,3] row_mask:0xf bank_mask:0xf// 000000020C98: 0B0706FA FF00FFF8
	v_mul_f32_dpp v132, v249, v132 quad_perm:[0,0,0,0] row_mask:0xf bank_mask:0xf// 000000020CA0: 0B0908FA FF0000F9
	v_mul_f32_dpp v133, v249, v133 quad_perm:[1,1,1,1] row_mask:0xf bank_mask:0xf// 000000020CA8: 0B0B0AFA FF0055F9
	v_mul_f32_dpp v134, v249, v134 quad_perm:[2,2,2,2] row_mask:0xf bank_mask:0xf// 000000020CB0: 0B0D0CFA FF00AAF9
	v_mul_f32_dpp v135, v249, v135 quad_perm:[3,3,3,3] row_mask:0xf bank_mask:0xf// 000000020CB8: 0B0F0EFA FF00FFF9
	v_mul_f32_dpp v136, v250, v136 quad_perm:[0,0,0,0] row_mask:0xf bank_mask:0xf// 000000020CC0: 0B1110FA FF0000FA
	v_mul_f32_dpp v137, v250, v137 quad_perm:[1,1,1,1] row_mask:0xf bank_mask:0xf// 000000020CC8: 0B1312FA FF0055FA
	v_mul_f32_dpp v138, v250, v138 quad_perm:[2,2,2,2] row_mask:0xf bank_mask:0xf// 000000020CD0: 0B1514FA FF00AAFA
	v_mul_f32_dpp v139, v250, v139 quad_perm:[3,3,3,3] row_mask:0xf bank_mask:0xf// 000000020CD8: 0B1716FA FF00FFFA
	v_mul_f32_dpp v140, v251, v140 quad_perm:[0,0,0,0] row_mask:0xf bank_mask:0xf// 000000020CE0: 0B1918FA FF0000FB
	v_mul_f32_dpp v141, v251, v141 quad_perm:[1,1,1,1] row_mask:0xf bank_mask:0xf// 000000020CE8: 0B1B1AFA FF0055FB
	v_mul_f32_dpp v142, v251, v142 quad_perm:[2,2,2,2] row_mask:0xf bank_mask:0xf// 000000020CF0: 0B1D1CFA FF00AAFB
	v_mul_f32_dpp v143, v251, v143 quad_perm:[3,3,3,3] row_mask:0xf bank_mask:0xf// 000000020CF8: 0B1F1EFA FF00FFFB
	v_mov_b32_e32 v48, v128                                    // 000000020D00: 7E600380
	v_max3_f32 v48, v128, v129, v48                            // 000000020D04: D1D30030 04C30380
	v_max3_f32 v48, v130, v131, v48                            // 000000020D0C: D1D30030 04C30782
	v_max3_f32 v48, v132, v133, v48                            // 000000020D14: D1D30030 04C30B84
	v_max3_f32 v48, v134, v135, v48                            // 000000020D1C: D1D30030 04C30F86
	v_max3_f32 v48, v136, v137, v48                            // 000000020D24: D1D30030 04C31388
	v_max3_f32 v48, v138, v139, v48                            // 000000020D2C: D1D30030 04C3178A
	v_max3_f32 v48, v140, v141, v48                            // 000000020D34: D1D30030 04C31B8C
	v_max3_f32 v48, v142, v143, v48                            // 000000020D3C: D1D30030 04C31F8E
	ds_write_b32 v8, v48 offset:16896                          // 000000020D44: D81A4200 00003008
	v_mul_f32_e32 v216, v50, v216                              // 000000020D4C: 0BB1B132
	v_mul_f32_e32 v217, v50, v217                              // 000000020D50: 0BB3B332
	v_mul_f32_e32 v218, v50, v218                              // 000000020D54: 0BB5B532
	v_mul_f32_e32 v219, v50, v219                              // 000000020D58: 0BB7B732
	v_mul_f32_e32 v220, v50, v220                              // 000000020D5C: 0BB9B932
	v_mul_f32_e32 v221, v50, v221                              // 000000020D60: 0BBBBB32
	v_mul_f32_e32 v222, v50, v222                              // 000000020D64: 0BBDBD32
	v_mul_f32_e32 v223, v50, v223                              // 000000020D68: 0BBFBF32
	s_waitcnt lgkmcnt(0)                                       // 000000020D6C: BF8CC07F
	s_barrier                                                  // 000000020D70: BF8A0000
	ds_read_b32 v64, v7 offset:16896                           // 000000020D74: D86C4200 40000007
	ds_read_b32 v65, v7 offset:16960                           // 000000020D7C: D86C4240 41000007
	ds_read_b32 v66, v7 offset:17024                           // 000000020D84: D86C4280 42000007
	ds_read_b32 v67, v7 offset:17088                           // 000000020D8C: D86C42C0 43000007
	ds_read_b32 v68, v7 offset:17152                           // 000000020D94: D86C4300 44000007
	ds_read_b32 v69, v7 offset:17216                           // 000000020D9C: D86C4340 45000007
	ds_read_b32 v70, v7 offset:17280                           // 000000020DA4: D86C4380 46000007
	ds_read_b32 v71, v7 offset:17344                           // 000000020DAC: D86C43C0 47000007
	ds_read_b32 v72, v7 offset:17408                           // 000000020DB4: D86C4400 48000007
	ds_read_b32 v73, v7 offset:17472                           // 000000020DBC: D86C4440 49000007
	ds_read_b32 v74, v7 offset:17536                           // 000000020DC4: D86C4480 4A000007
	ds_read_b32 v75, v7 offset:17600                           // 000000020DCC: D86C44C0 4B000007
	ds_read_b32 v76, v7 offset:17664                           // 000000020DD4: D86C4500 4C000007
	ds_read_b32 v77, v7 offset:17728                           // 000000020DDC: D86C4540 4D000007
	ds_read_b32 v78, v7 offset:17792                           // 000000020DE4: D86C4580 4E000007
	ds_read_b32 v79, v7 offset:17856                           // 000000020DEC: D86C45C0 4F000007
	v_cvt_f32_i32_e32 v184, v184                               // 000000020DF4: 7F700BB8
	v_cvt_f32_i32_e32 v185, v185                               // 000000020DF8: 7F720BB9
	v_cvt_f32_i32_e32 v186, v186                               // 000000020DFC: 7F740BBA
	v_cvt_f32_i32_e32 v187, v187                               // 000000020E00: 7F760BBB
	v_cvt_f32_i32_e32 v188, v188                               // 000000020E04: 7F780BBC
	v_cvt_f32_i32_e32 v189, v189                               // 000000020E08: 7F7A0BBD
	v_cvt_f32_i32_e32 v190, v190                               // 000000020E0C: 7F7C0BBE
	v_cvt_f32_i32_e32 v191, v191                               // 000000020E10: 7F7E0BBF
	v_mul_f32_e32 v184, v45, v184                              // 000000020E14: 0B71712D
	v_mul_f32_e32 v185, v45, v185                              // 000000020E18: 0B73732D
	v_mul_f32_e32 v186, v45, v186                              // 000000020E1C: 0B75752D
	v_mul_f32_e32 v187, v45, v187                              // 000000020E20: 0B77772D
	v_mul_f32_e32 v188, v45, v188                              // 000000020E24: 0B79792D
	v_mul_f32_e32 v189, v45, v189                              // 000000020E28: 0B7B7B2D
	v_mul_f32_e32 v190, v45, v190                              // 000000020E2C: 0B7D7D2D
	v_mul_f32_e32 v191, v45, v191                              // 000000020E30: 0B7F7F2D
	s_waitcnt lgkmcnt(0)                                       // 000000020E34: BF8CC07F
	v_max3_f32 v48, v64, v65, v48                              // 000000020E38: D1D30030 04C28340
	v_max3_f32 v48, v66, v67, v48                              // 000000020E40: D1D30030 04C28742
	v_max3_f32 v48, v68, v69, v48                              // 000000020E48: D1D30030 04C28B44
	v_max3_f32 v48, v70, v71, v48                              // 000000020E50: D1D30030 04C28F46
	v_max3_f32 v48, v72, v73, v48                              // 000000020E58: D1D30030 04C29348
	v_max3_f32 v48, v74, v75, v48                              // 000000020E60: D1D30030 04C2974A
	v_max3_f32 v48, v76, v77, v48                              // 000000020E68: D1D30030 04C29B4C
	v_max3_f32 v48, v78, v79, v48                              // 000000020E70: D1D30030 04C29F4E
	v_mov_b32_e32 v64, 0xff800000                              // 000000020E78: 7E8002FF FF800000
	v_cmp_eq_u32_e64 s[40:41], v64, v12                        // 000000020E80: D0CA0028 00021940
	s_nop 1                                                    // 000000020E88: BF800001
	v_max_f32_e32 v15, v48, v12                                // 000000020E8C: 161E1930
	v_mul_f32_e32 v53, s64, v15                                // 000000020E90: 0A6A1E40
	v_fma_f32 v128, v128, s64, -v53                            // 000000020E94: D1CB0080 84D48180
	v_fma_f32 v129, v129, s64, -v53                            // 000000020E9C: D1CB0081 84D48181
	v_fma_f32 v130, v130, s64, -v53                            // 000000020EA4: D1CB0082 84D48182
	v_fma_f32 v131, v131, s64, -v53                            // 000000020EAC: D1CB0083 84D48183
	v_fma_f32 v132, v132, s64, -v53                            // 000000020EB4: D1CB0084 84D48184
	v_fma_f32 v133, v133, s64, -v53                            // 000000020EBC: D1CB0085 84D48185
	v_fma_f32 v134, v134, s64, -v53                            // 000000020EC4: D1CB0086 84D48186
	v_fma_f32 v135, v135, s64, -v53                            // 000000020ECC: D1CB0087 84D48187
	v_fma_f32 v136, v136, s64, -v53                            // 000000020ED4: D1CB0088 84D48188
	v_fma_f32 v137, v137, s64, -v53                            // 000000020EDC: D1CB0089 84D48189
	v_fma_f32 v138, v138, s64, -v53                            // 000000020EE4: D1CB008A 84D4818A
	v_fma_f32 v139, v139, s64, -v53                            // 000000020EEC: D1CB008B 84D4818B
	v_fma_f32 v140, v140, s64, -v53                            // 000000020EF4: D1CB008C 84D4818C
	v_fma_f32 v141, v141, s64, -v53                            // 000000020EFC: D1CB008D 84D4818D
	v_fma_f32 v142, v142, s64, -v53                            // 000000020F04: D1CB008E 84D4818E
	v_fma_f32 v143, v143, s64, -v53                            // 000000020F0C: D1CB008F 84D4818F
	v_exp_f32_e32 v128, v128                                   // 000000020F14: 7F004180
	v_exp_f32_e32 v129, v129                                   // 000000020F18: 7F024181
	v_exp_f32_e32 v130, v130                                   // 000000020F1C: 7F044182
	v_exp_f32_e32 v131, v131                                   // 000000020F20: 7F064183
	v_exp_f32_e32 v132, v132                                   // 000000020F24: 7F084184
	v_exp_f32_e32 v133, v133                                   // 000000020F28: 7F0A4185
	v_exp_f32_e32 v134, v134                                   // 000000020F2C: 7F0C4186
	v_exp_f32_e32 v135, v135                                   // 000000020F30: 7F0E4187
	v_exp_f32_e32 v136, v136                                   // 000000020F34: 7F104188
	v_exp_f32_e32 v137, v137                                   // 000000020F38: 7F124189
	v_exp_f32_e32 v138, v138                                   // 000000020F3C: 7F14418A
	v_exp_f32_e32 v139, v139                                   // 000000020F40: 7F16418B
	v_exp_f32_e32 v140, v140                                   // 000000020F44: 7F18418C
	v_exp_f32_e32 v141, v141                                   // 000000020F48: 7F1A418D
	v_exp_f32_e32 v142, v142                                   // 000000020F4C: 7F1C418E
	v_exp_f32_e32 v143, v143                                   // 000000020F50: 7F1E418F
	v_mul_f32_dpp v240, v252, v128 quad_perm:[0,0,0,0] row_mask:0xf bank_mask:0xf// 000000020F54: 0BE100FA FF0000FC
	v_mul_f32_dpp v241, v252, v129 quad_perm:[1,1,1,1] row_mask:0xf bank_mask:0xf// 000000020F5C: 0BE302FA FF0055FC
	v_mul_f32_dpp v242, v252, v130 quad_perm:[2,2,2,2] row_mask:0xf bank_mask:0xf// 000000020F64: 0BE504FA FF00AAFC
	v_mul_f32_dpp v243, v252, v131 quad_perm:[3,3,3,3] row_mask:0xf bank_mask:0xf// 000000020F6C: 0BE706FA FF00FFFC
	v_mul_f32_dpp v244, v253, v132 quad_perm:[0,0,0,0] row_mask:0xf bank_mask:0xf// 000000020F74: 0BE908FA FF0000FD
	v_mul_f32_dpp v245, v253, v133 quad_perm:[1,1,1,1] row_mask:0xf bank_mask:0xf// 000000020F7C: 0BEB0AFA FF0055FD
	v_mul_f32_dpp v246, v253, v134 quad_perm:[2,2,2,2] row_mask:0xf bank_mask:0xf// 000000020F84: 0BED0CFA FF00AAFD
	v_mul_f32_dpp v247, v253, v135 quad_perm:[3,3,3,3] row_mask:0xf bank_mask:0xf// 000000020F8C: 0BEF0EFA FF00FFFD
	v_mul_f32_dpp v248, v254, v136 quad_perm:[0,0,0,0] row_mask:0xf bank_mask:0xf// 000000020F94: 0BF110FA FF0000FE
	v_mul_f32_dpp v249, v254, v137 quad_perm:[1,1,1,1] row_mask:0xf bank_mask:0xf// 000000020F9C: 0BF312FA FF0055FE
	v_mul_f32_dpp v250, v254, v138 quad_perm:[2,2,2,2] row_mask:0xf bank_mask:0xf// 000000020FA4: 0BF514FA FF00AAFE
	v_mul_f32_dpp v251, v254, v139 quad_perm:[3,3,3,3] row_mask:0xf bank_mask:0xf// 000000020FAC: 0BF716FA FF00FFFE
	v_mul_f32_dpp v252, v255, v140 quad_perm:[0,0,0,0] row_mask:0xf bank_mask:0xf// 000000020FB4: 0BF918FA FF0000FF
	v_mul_f32_dpp v253, v255, v141 quad_perm:[1,1,1,1] row_mask:0xf bank_mask:0xf// 000000020FBC: 0BFB1AFA FF0055FF
	v_mul_f32_dpp v254, v255, v142 quad_perm:[2,2,2,2] row_mask:0xf bank_mask:0xf// 000000020FC4: 0BFD1CFA FF00AAFF
	v_mul_f32_dpp v255, v255, v143 quad_perm:[3,3,3,3] row_mask:0xf bank_mask:0xf// 000000020FCC: 0BFF1EFA FF00FFFF
	v_mov_b32_e32 v48, 0x358637bd                              // 000000020FD4: 7E6002FF 358637BD
	v_max3_f32 v48, |v240|, |v241|, v48                        // 000000020FDC: D1D30330 04C3E3F0
	v_max3_f32 v48, |v242|, |v243|, v48                        // 000000020FE4: D1D30330 04C3E7F2
	v_max3_f32 v48, |v244|, |v245|, v48                        // 000000020FEC: D1D30330 04C3EBF4
	v_max3_f32 v48, |v246|, |v247|, v48                        // 000000020FF4: D1D30330 04C3EFF6
	v_max3_f32 v48, |v248|, |v249|, v48                        // 000000020FFC: D1D30330 04C3F3F8
	v_max3_f32 v48, |v250|, |v251|, v48                        // 000000021004: D1D30330 04C3F7FA
	v_max3_f32 v48, |v252|, |v253|, v48                        // 00000002100C: D1D30330 04C3FBFC
	v_max3_f32 v48, |v254|, |v255|, v48                        // 000000021014: D1D30330 04C3FFFE
	ds_write_b32 v8, v48 offset:20992                          // 00000002101C: D81A5200 00003008
	v_sub_f32_e32 v50, v12, v15                                // 000000021024: 04641F0C
	v_cndmask_b32_e64 v50, v50, 0, s[40:41]                    // 000000021028: D1000032 00A10132
	v_mov_b32_e32 v12, v15                                     // 000000021030: 7E18030F
	v_mul_f32_e32 v50, s64, v50                                // 000000021034: 0A646440
	v_exp_f32_e32 v50, v50                                     // 000000021038: 7E644132
	s_waitcnt lgkmcnt(0)                                       // 00000002103C: BF8CC07F
	s_barrier                                                  // 000000021040: BF8A0000
	ds_read_b32 v64, v7 offset:20992                           // 000000021044: D86C5200 40000007
	ds_read_b32 v65, v7 offset:21056                           // 00000002104C: D86C5240 41000007
	ds_read_b32 v66, v7 offset:21120                           // 000000021054: D86C5280 42000007
	ds_read_b32 v67, v7 offset:21184                           // 00000002105C: D86C52C0 43000007
	ds_read_b32 v68, v7 offset:21248                           // 000000021064: D86C5300 44000007
	ds_read_b32 v69, v7 offset:21312                           // 00000002106C: D86C5340 45000007
	ds_read_b32 v70, v7 offset:21376                           // 000000021074: D86C5380 46000007
	ds_read_b32 v71, v7 offset:21440                           // 00000002107C: D86C53C0 47000007
	ds_read_b32 v72, v7 offset:21504                           // 000000021084: D86C5400 48000007
	ds_read_b32 v73, v7 offset:21568                           // 00000002108C: D86C5440 49000007
	ds_read_b32 v74, v7 offset:21632                           // 000000021094: D86C5480 4A000007
	ds_read_b32 v75, v7 offset:21696                           // 00000002109C: D86C54C0 4B000007
	ds_read_b32 v76, v7 offset:21760                           // 0000000210A4: D86C5500 4C000007
	ds_read_b32 v77, v7 offset:21824                           // 0000000210AC: D86C5540 4D000007
	ds_read_b32 v78, v7 offset:21888                           // 0000000210B4: D86C5580 4E000007
	ds_read_b32 v79, v7 offset:21952                           // 0000000210BC: D86C55C0 4F000007
	v_mul_f32_e32 v39, v50, v39                                // 0000000210C4: 0A4E4F32
	v_mov_b32_e32 v15, v128                                    // 0000000210C8: 7E1E0380
	v_add_f32_e32 v15, v129, v15                               // 0000000210CC: 021E1F81
	v_add_f32_e32 v15, v130, v15                               // 0000000210D0: 021E1F82
	v_add_f32_e32 v15, v131, v15                               // 0000000210D4: 021E1F83
	v_add_f32_e32 v15, v132, v15                               // 0000000210D8: 021E1F84
	v_add_f32_e32 v15, v133, v15                               // 0000000210DC: 021E1F85
	v_add_f32_e32 v15, v134, v15                               // 0000000210E0: 021E1F86
	v_add_f32_e32 v15, v135, v15                               // 0000000210E4: 021E1F87
	v_add_f32_e32 v15, v136, v15                               // 0000000210E8: 021E1F88
	v_add_f32_e32 v15, v137, v15                               // 0000000210EC: 021E1F89
	v_add_f32_e32 v15, v138, v15                               // 0000000210F0: 021E1F8A
	v_add_f32_e32 v15, v139, v15                               // 0000000210F4: 021E1F8B
	v_add_f32_e32 v15, v140, v15                               // 0000000210F8: 021E1F8C
	v_add_f32_e32 v15, v141, v15                               // 0000000210FC: 021E1F8D
	v_add_f32_e32 v15, v142, v15                               // 000000021100: 021E1F8E
	v_add_f32_e32 v15, v143, v15                               // 000000021104: 021E1F8F
	v_add_f32_e32 v39, v15, v39                                // 000000021108: 024E4F0F
	s_waitcnt lgkmcnt(0)                                       // 00000002110C: BF8CC07F
	v_max3_f32 v48, |v64|, |v65|, v48                          // 000000021110: D1D30330 04C28340
	v_max3_f32 v48, |v66|, |v67|, v48                          // 000000021118: D1D30330 04C28742
	v_max3_f32 v48, |v68|, |v69|, v48                          // 000000021120: D1D30330 04C28B44
	v_max3_f32 v48, |v70|, |v71|, v48                          // 000000021128: D1D30330 04C28F46
	v_max3_f32 v48, |v72|, |v73|, v48                          // 000000021130: D1D30330 04C29348
	v_max3_f32 v48, |v74|, |v75|, v48                          // 000000021138: D1D30330 04C2974A
	v_max3_f32 v48, |v76|, |v77|, v48                          // 000000021140: D1D30330 04C29B4C
	v_max3_f32 v48, |v78|, |v79|, v48                          // 000000021148: D1D30330 04C29F4E
	s_nop 2                                                    // 000000021150: BF800002
	v_rcp_f32_e32 v48, v48                                     // 000000021154: 7E604530
	s_nop 1                                                    // 000000021158: BF800001
	v_mul_f32_e32 v48, 0x42fe0000, v48                         // 00000002115C: 0A6060FF 42FE0000
	v_mul_f32_e32 v128, v48, v240                              // 000000021164: 0B01E130
	v_mul_f32_e32 v129, v48, v241                              // 000000021168: 0B03E330
	v_mul_f32_e32 v130, v48, v242                              // 00000002116C: 0B05E530
	v_mul_f32_e32 v131, v48, v243                              // 000000021170: 0B07E730
	v_mul_f32_e32 v132, v48, v244                              // 000000021174: 0B09E930
	v_mul_f32_e32 v133, v48, v245                              // 000000021178: 0B0BEB30
	v_mul_f32_e32 v134, v48, v246                              // 00000002117C: 0B0DED30
	v_mul_f32_e32 v135, v48, v247                              // 000000021180: 0B0FEF30
	v_mul_f32_e32 v136, v48, v248                              // 000000021184: 0B11F130
	v_mul_f32_e32 v137, v48, v249                              // 000000021188: 0B13F330
	v_mul_f32_e32 v138, v48, v250                              // 00000002118C: 0B15F530
	v_mul_f32_e32 v139, v48, v251                              // 000000021190: 0B17F730
	v_mul_f32_e32 v140, v48, v252                              // 000000021194: 0B19F930
	v_mul_f32_e32 v141, v48, v253                              // 000000021198: 0B1BFB30
	v_mul_f32_e32 v142, v48, v254                              // 00000002119C: 0B1DFD30
	v_mul_f32_e32 v143, v48, v255                              // 0000000211A0: 0B1FFF30
	v_cvt_i32_f32_e32 v128, v128                               // 0000000211A4: 7F001180
	v_cvt_i32_f32_e32 v129, v129                               // 0000000211A8: 7F021181
	v_cvt_i32_f32_e32 v130, v130                               // 0000000211AC: 7F041182
	v_cvt_i32_f32_e32 v131, v131                               // 0000000211B0: 7F061183
	v_cvt_i32_f32_e32 v132, v132                               // 0000000211B4: 7F081184
	v_cvt_i32_f32_e32 v133, v133                               // 0000000211B8: 7F0A1185
	v_cvt_i32_f32_e32 v134, v134                               // 0000000211BC: 7F0C1186
	v_cvt_i32_f32_e32 v135, v135                               // 0000000211C0: 7F0E1187
	v_cvt_i32_f32_e32 v136, v136                               // 0000000211C4: 7F101188
	v_cvt_i32_f32_e32 v137, v137                               // 0000000211C8: 7F121189
	v_cvt_i32_f32_e32 v138, v138                               // 0000000211CC: 7F14118A
	v_cvt_i32_f32_e32 v139, v139                               // 0000000211D0: 7F16118B
	v_cvt_i32_f32_e32 v140, v140                               // 0000000211D4: 7F18118C
	v_cvt_i32_f32_e32 v141, v141                               // 0000000211D8: 7F1A118D
	v_cvt_i32_f32_e32 v142, v142                               // 0000000211DC: 7F1C118E
	v_cvt_i32_f32_e32 v143, v143                               // 0000000211E0: 7F1E118F
	v_perm_b32 v128, v129, v128, s53                           // 0000000211E4: D1ED0080 00D70181
	v_perm_b32 v128, v130, v128, s54                           // 0000000211EC: D1ED0080 00DB0182
	v_perm_b32 v128, v131, v128, s55                           // 0000000211F4: D1ED0080 00DF0183
	v_perm_b32 v129, v133, v132, s53                           // 0000000211FC: D1ED0081 00D70985
	v_perm_b32 v129, v134, v129, s54                           // 000000021204: D1ED0081 00DB0386
	v_perm_b32 v129, v135, v129, s55                           // 00000002120C: D1ED0081 00DF0387
	v_perm_b32 v130, v137, v136, s53                           // 000000021214: D1ED0082 00D71189
	v_perm_b32 v130, v138, v130, s54                           // 00000002121C: D1ED0082 00DB058A
	v_perm_b32 v130, v139, v130, s55                           // 000000021224: D1ED0082 00DF058B
	v_perm_b32 v131, v141, v140, s53                           // 00000002122C: D1ED0083 00D7198D
	v_perm_b32 v131, v142, v131, s54                           // 000000021234: D1ED0083 00DB078E
	v_perm_b32 v131, v143, v131, s55                           // 00000002123C: D1ED0083 00DF078F
	ds_write_b32 v10, v128 offset:29184                        // 000000021244: D81A7200 0000800A
	ds_write_b32 v10, v129 offset:30208                        // 00000002124C: D81A7600 0000810A
	ds_write_b32 v10, v130 offset:31232                        // 000000021254: D81A7A00 0000820A
	ds_write_b32 v10, v131 offset:32256                        // 00000002125C: D81A7E00 0000830A
	v_add_f32_e32 v216, v216, v184                             // 000000021264: 03B171D8
	v_add_f32_e32 v217, v217, v185                             // 000000021268: 03B373D9
	v_add_f32_e32 v218, v218, v186                             // 00000002126C: 03B575DA
	v_add_f32_e32 v219, v219, v187                             // 000000021270: 03B777DB
	v_add_f32_e32 v220, v220, v188                             // 000000021274: 03B979DC
	v_add_f32_e32 v221, v221, v189                             // 000000021278: 03BB7BDD
	v_add_f32_e32 v222, v222, v190                             // 00000002127C: 03BD7DDE
	v_add_f32_e32 v223, v223, v191                             // 000000021280: 03BF7FDF
	v_rcp_f32_e32 v45, v48                                     // 000000021284: 7E5A4530
	s_waitcnt lgkmcnt(0)                                       // 000000021288: BF8CC07F
	s_barrier                                                  // 00000002128C: BF8A0000
	ds_read_b64 v[128:129], v9 offset:29184                    // 000000021290: D8EC7200 80000009
	ds_read_b64 v[130:131], v9 offset:29312                    // 000000021298: D8EC7280 82000009
	ds_read_b64 v[132:133], v9 offset:30208                    // 0000000212A0: D8EC7600 84000009
	ds_read_b64 v[134:135], v9 offset:30336                    // 0000000212A8: D8EC7680 86000009
	ds_read_b64 v[136:137], v9 offset:31232                    // 0000000212B0: D8EC7A00 88000009
	ds_read_b64 v[138:139], v9 offset:31360                    // 0000000212B8: D8EC7A80 8A000009
	ds_read_b64 v[140:141], v9 offset:32256                    // 0000000212C0: D8EC7E00 8C000009
	ds_read_b64 v[142:143], v9 offset:32384                    // 0000000212C8: D8EC7E80 8E000009
	v_mov_b32_dpp v64, v42 row_shr:4 row_mask:0xf bank_mask:0xf// 0000000212D0: 7E8002FA FF01142A
	v_mov_b32_dpp v65, v42 row_shl:4 row_mask:0xf bank_mask:0xf// 0000000212D8: 7E8202FA FF01042A
	v_cndmask_b32_e64 v248, v42, v64, s[44:45]                 // 0000000212E0: D10000F8 00B2812A
	v_cndmask_b32_e64 v249, v65, v42, s[44:45]                 // 0000000212E8: D10000F9 00B25541
	v_mov_b32_dpp v64, v248 row_shr:8 row_mask:0xf bank_mask:0xf// 0000000212F0: 7E8002FA FF0118F8
	v_mov_b32_dpp v65, v248 row_shl:8 row_mask:0xf bank_mask:0xf// 0000000212F8: 7E8202FA FF0108F8
	v_mov_b32_dpp v66, v249 row_shr:8 row_mask:0xf bank_mask:0xf// 000000021300: 7E8402FA FF0118F9
	v_mov_b32_dpp v67, v249 row_shl:8 row_mask:0xf bank_mask:0xf// 000000021308: 7E8602FA FF0108F9
	v_mov_b32_e32 v68, v248                                    // 000000021310: 7E8803F8
	v_mov_b32_e32 v69, v249                                    // 000000021314: 7E8A03F9
	v_cndmask_b32_e64 v248, v68, v64, s[42:43]                 // 000000021318: D10000F8 00AA8144
	v_cndmask_b32_e64 v250, v68, v65, s[78:79]                 // 000000021320: D10000FA 013A8344
	v_cndmask_b32_e64 v249, v69, v66, s[42:43]                 // 000000021328: D10000F9 00AA8545
	v_cndmask_b32_e64 v251, v69, v67, s[78:79]                 // 000000021330: D10000FB 013A8745
	v_mov_b32_dpp v64, v57 row_shr:4 row_mask:0xf bank_mask:0xf// 000000021338: 7E8002FA FF011439
	v_mov_b32_dpp v65, v57 row_shl:4 row_mask:0xf bank_mask:0xf// 000000021340: 7E8202FA FF010439
	v_cndmask_b32_e64 v252, v57, v64, s[44:45]                 // 000000021348: D10000FC 00B28139
	v_cndmask_b32_e64 v253, v65, v57, s[44:45]                 // 000000021350: D10000FD 00B27341
	v_mov_b32_dpp v64, v252 row_shr:8 row_mask:0xf bank_mask:0xf// 000000021358: 7E8002FA FF0118FC
	v_mov_b32_dpp v65, v252 row_shl:8 row_mask:0xf bank_mask:0xf// 000000021360: 7E8202FA FF0108FC
	v_mov_b32_dpp v66, v253 row_shr:8 row_mask:0xf bank_mask:0xf// 000000021368: 7E8402FA FF0118FD
	v_mov_b32_dpp v67, v253 row_shl:8 row_mask:0xf bank_mask:0xf// 000000021370: 7E8602FA FF0108FD
	v_mov_b32_e32 v68, v252                                    // 000000021378: 7E8803FC
	v_mov_b32_e32 v69, v253                                    // 00000002137C: 7E8A03FD
	v_cndmask_b32_e64 v252, v68, v64, s[42:43]                 // 000000021380: D10000FC 00AA8144
	v_cndmask_b32_e64 v254, v68, v65, s[78:79]                 // 000000021388: D10000FE 013A8344
	v_cndmask_b32_e64 v253, v69, v66, s[42:43]                 // 000000021390: D10000FD 00AA8545
	v_cndmask_b32_e64 v255, v69, v67, s[78:79]                 // 000000021398: D10000FF 013A8745
	v_cvt_f32_i32_e32 v144, v144                               // 0000000213A0: 7F200B90
	v_cvt_f32_i32_e32 v145, v145                               // 0000000213A4: 7F220B91
	v_cvt_f32_i32_e32 v146, v146                               // 0000000213A8: 7F240B92
	v_cvt_f32_i32_e32 v147, v147                               // 0000000213AC: 7F260B93
	v_cvt_f32_i32_e32 v148, v148                               // 0000000213B0: 7F280B94
	v_cvt_f32_i32_e32 v149, v149                               // 0000000213B4: 7F2A0B95
	v_cvt_f32_i32_e32 v150, v150                               // 0000000213B8: 7F2C0B96
	v_cvt_f32_i32_e32 v151, v151                               // 0000000213BC: 7F2E0B97
	v_cvt_f32_i32_e32 v152, v152                               // 0000000213C0: 7F300B98
	v_cvt_f32_i32_e32 v153, v153                               // 0000000213C4: 7F320B99
	v_cvt_f32_i32_e32 v154, v154                               // 0000000213C8: 7F340B9A
	v_cvt_f32_i32_e32 v155, v155                               // 0000000213CC: 7F360B9B
	v_cvt_f32_i32_e32 v156, v156                               // 0000000213D0: 7F380B9C
	v_cvt_f32_i32_e32 v157, v157                               // 0000000213D4: 7F3A0B9D
	v_cvt_f32_i32_e32 v158, v158                               // 0000000213D8: 7F3C0B9E
	v_cvt_f32_i32_e32 v159, v159                               // 0000000213DC: 7F3E0B9F
	v_mul_f32_e32 v144, v20, v144                              // 0000000213E0: 0B212114
	v_mul_f32_e32 v145, v20, v145                              // 0000000213E4: 0B232314
	v_mul_f32_e32 v146, v20, v146                              // 0000000213E8: 0B252514
	v_mul_f32_e32 v147, v20, v147                              // 0000000213EC: 0B272714
	v_mul_f32_e32 v148, v20, v148                              // 0000000213F0: 0B292914
	v_mul_f32_e32 v149, v20, v149                              // 0000000213F4: 0B2B2B14
	v_mul_f32_e32 v150, v20, v150                              // 0000000213F8: 0B2D2D14
	v_mul_f32_e32 v151, v20, v151                              // 0000000213FC: 0B2F2F14
	v_mul_f32_e32 v152, v20, v152                              // 000000021400: 0B313114
	v_mul_f32_e32 v153, v20, v153                              // 000000021404: 0B333314
	v_mul_f32_e32 v154, v20, v154                              // 000000021408: 0B353514
	v_mul_f32_e32 v155, v20, v155                              // 00000002140C: 0B373714
	v_mul_f32_e32 v156, v20, v156                              // 000000021410: 0B393914
	v_mul_f32_e32 v157, v20, v157                              // 000000021414: 0B3B3B14
	v_mul_f32_e32 v158, v20, v158                              // 000000021418: 0B3D3D14
	v_mul_f32_e32 v159, v20, v159                              // 00000002141C: 0B3F3F14
	v_mul_f32_dpp v144, v248, v144 quad_perm:[0,0,0,0] row_mask:0xf bank_mask:0xf// 000000021420: 0B2120FA FF0000F8
	v_mul_f32_dpp v145, v248, v145 quad_perm:[1,1,1,1] row_mask:0xf bank_mask:0xf// 000000021428: 0B2322FA FF0055F8
	v_mul_f32_dpp v146, v248, v146 quad_perm:[2,2,2,2] row_mask:0xf bank_mask:0xf// 000000021430: 0B2524FA FF00AAF8
	v_mul_f32_dpp v147, v248, v147 quad_perm:[3,3,3,3] row_mask:0xf bank_mask:0xf// 000000021438: 0B2726FA FF00FFF8
	v_mul_f32_dpp v148, v249, v148 quad_perm:[0,0,0,0] row_mask:0xf bank_mask:0xf// 000000021440: 0B2928FA FF0000F9
	v_mul_f32_dpp v149, v249, v149 quad_perm:[1,1,1,1] row_mask:0xf bank_mask:0xf// 000000021448: 0B2B2AFA FF0055F9
	v_mul_f32_dpp v150, v249, v150 quad_perm:[2,2,2,2] row_mask:0xf bank_mask:0xf// 000000021450: 0B2D2CFA FF00AAF9
	v_mul_f32_dpp v151, v249, v151 quad_perm:[3,3,3,3] row_mask:0xf bank_mask:0xf// 000000021458: 0B2F2EFA FF00FFF9
	v_mul_f32_dpp v152, v250, v152 quad_perm:[0,0,0,0] row_mask:0xf bank_mask:0xf// 000000021460: 0B3130FA FF0000FA
	v_mul_f32_dpp v153, v250, v153 quad_perm:[1,1,1,1] row_mask:0xf bank_mask:0xf// 000000021468: 0B3332FA FF0055FA
	v_mul_f32_dpp v154, v250, v154 quad_perm:[2,2,2,2] row_mask:0xf bank_mask:0xf// 000000021470: 0B3534FA FF00AAFA
	v_mul_f32_dpp v155, v250, v155 quad_perm:[3,3,3,3] row_mask:0xf bank_mask:0xf// 000000021478: 0B3736FA FF00FFFA
	v_mul_f32_dpp v156, v251, v156 quad_perm:[0,0,0,0] row_mask:0xf bank_mask:0xf// 000000021480: 0B3938FA FF0000FB
	v_mul_f32_dpp v157, v251, v157 quad_perm:[1,1,1,1] row_mask:0xf bank_mask:0xf// 000000021488: 0B3B3AFA FF0055FB
	v_mul_f32_dpp v158, v251, v158 quad_perm:[2,2,2,2] row_mask:0xf bank_mask:0xf// 000000021490: 0B3D3CFA FF00AAFB
	v_mul_f32_dpp v159, v251, v159 quad_perm:[3,3,3,3] row_mask:0xf bank_mask:0xf// 000000021498: 0B3F3EFA FF00FFFB
	v_mov_b32_e32 v48, v144                                    // 0000000214A0: 7E600390
	v_max3_f32 v48, v144, v145, v48                            // 0000000214A4: D1D30030 04C32390
	v_max3_f32 v48, v146, v147, v48                            // 0000000214AC: D1D30030 04C32792
	v_max3_f32 v48, v148, v149, v48                            // 0000000214B4: D1D30030 04C32B94
	v_max3_f32 v48, v150, v151, v48                            // 0000000214BC: D1D30030 04C32F96
	v_max3_f32 v48, v152, v153, v48                            // 0000000214C4: D1D30030 04C33398
	v_max3_f32 v48, v154, v155, v48                            // 0000000214CC: D1D30030 04C3379A
	v_max3_f32 v48, v156, v157, v48                            // 0000000214D4: D1D30030 04C33B9C
	v_max3_f32 v48, v158, v159, v48                            // 0000000214DC: D1D30030 04C33F9E
	ds_write_b32 v8, v48 offset:16896                          // 0000000214E4: D81A4200 00003008
	v_mul_f32_e32 v224, v51, v224                              // 0000000214EC: 0BC1C133
	v_mul_f32_e32 v225, v51, v225                              // 0000000214F0: 0BC3C333
	v_mul_f32_e32 v226, v51, v226                              // 0000000214F4: 0BC5C533
	v_mul_f32_e32 v227, v51, v227                              // 0000000214F8: 0BC7C733
	v_mul_f32_e32 v228, v51, v228                              // 0000000214FC: 0BC9C933
	v_mul_f32_e32 v229, v51, v229                              // 000000021500: 0BCBCB33
	v_mul_f32_e32 v230, v51, v230                              // 000000021504: 0BCDCD33
	v_mul_f32_e32 v231, v51, v231                              // 000000021508: 0BCFCF33
	s_waitcnt lgkmcnt(0)                                       // 00000002150C: BF8CC07F
	s_barrier                                                  // 000000021510: BF8A0000
	ds_read_b32 v64, v7 offset:16896                           // 000000021514: D86C4200 40000007
	ds_read_b32 v65, v7 offset:16960                           // 00000002151C: D86C4240 41000007
	ds_read_b32 v66, v7 offset:17024                           // 000000021524: D86C4280 42000007
	ds_read_b32 v67, v7 offset:17088                           // 00000002152C: D86C42C0 43000007
	ds_read_b32 v68, v7 offset:17152                           // 000000021534: D86C4300 44000007
	ds_read_b32 v69, v7 offset:17216                           // 00000002153C: D86C4340 45000007
	ds_read_b32 v70, v7 offset:17280                           // 000000021544: D86C4380 46000007
	ds_read_b32 v71, v7 offset:17344                           // 00000002154C: D86C43C0 47000007
	ds_read_b32 v72, v7 offset:17408                           // 000000021554: D86C4400 48000007
	ds_read_b32 v73, v7 offset:17472                           // 00000002155C: D86C4440 49000007
	ds_read_b32 v74, v7 offset:17536                           // 000000021564: D86C4480 4A000007
	ds_read_b32 v75, v7 offset:17600                           // 00000002156C: D86C44C0 4B000007
	ds_read_b32 v76, v7 offset:17664                           // 000000021574: D86C4500 4C000007
	ds_read_b32 v77, v7 offset:17728                           // 00000002157C: D86C4540 4D000007
	ds_read_b32 v78, v7 offset:17792                           // 000000021584: D86C4580 4E000007
	ds_read_b32 v79, v7 offset:17856                           // 00000002158C: D86C45C0 4F000007
	v_cvt_f32_i32_e32 v192, v192                               // 000000021594: 7F800BC0
	v_cvt_f32_i32_e32 v193, v193                               // 000000021598: 7F820BC1
	v_cvt_f32_i32_e32 v194, v194                               // 00000002159C: 7F840BC2
	v_cvt_f32_i32_e32 v195, v195                               // 0000000215A0: 7F860BC3
	v_cvt_f32_i32_e32 v196, v196                               // 0000000215A4: 7F880BC4
	v_cvt_f32_i32_e32 v197, v197                               // 0000000215A8: 7F8A0BC5
	v_cvt_f32_i32_e32 v198, v198                               // 0000000215AC: 7F8C0BC6
	v_cvt_f32_i32_e32 v199, v199                               // 0000000215B0: 7F8E0BC7
	v_mul_f32_e32 v192, v46, v192                              // 0000000215B4: 0B81812E
	v_mul_f32_e32 v193, v46, v193                              // 0000000215B8: 0B83832E
	v_mul_f32_e32 v194, v46, v194                              // 0000000215BC: 0B85852E
	v_mul_f32_e32 v195, v46, v195                              // 0000000215C0: 0B87872E
	v_mul_f32_e32 v196, v46, v196                              // 0000000215C4: 0B89892E
	v_mul_f32_e32 v197, v46, v197                              // 0000000215C8: 0B8B8B2E
	v_mul_f32_e32 v198, v46, v198                              // 0000000215CC: 0B8D8D2E
	v_mul_f32_e32 v199, v46, v199                              // 0000000215D0: 0B8F8F2E
	s_waitcnt lgkmcnt(0)                                       // 0000000215D4: BF8CC07F
	v_max3_f32 v48, v64, v65, v48                              // 0000000215D8: D1D30030 04C28340
	v_max3_f32 v48, v66, v67, v48                              // 0000000215E0: D1D30030 04C28742
	v_max3_f32 v48, v68, v69, v48                              // 0000000215E8: D1D30030 04C28B44
	v_max3_f32 v48, v70, v71, v48                              // 0000000215F0: D1D30030 04C28F46
	v_max3_f32 v48, v72, v73, v48                              // 0000000215F8: D1D30030 04C29348
	v_max3_f32 v48, v74, v75, v48                              // 000000021600: D1D30030 04C2974A
	v_max3_f32 v48, v76, v77, v48                              // 000000021608: D1D30030 04C29B4C
	v_max3_f32 v48, v78, v79, v48                              // 000000021610: D1D30030 04C29F4E
	v_mov_b32_e32 v64, 0xff800000                              // 000000021618: 7E8002FF FF800000
	v_cmp_eq_u32_e64 s[40:41], v64, v13                        // 000000021620: D0CA0028 00021B40
	s_nop 1                                                    // 000000021628: BF800001
	v_max_f32_e32 v15, v48, v13                                // 00000002162C: 161E1B30
	v_mul_f32_e32 v53, s64, v15                                // 000000021630: 0A6A1E40
	v_fma_f32 v144, v144, s64, -v53                            // 000000021634: D1CB0090 84D48190
	v_fma_f32 v145, v145, s64, -v53                            // 00000002163C: D1CB0091 84D48191
	v_fma_f32 v146, v146, s64, -v53                            // 000000021644: D1CB0092 84D48192
	v_fma_f32 v147, v147, s64, -v53                            // 00000002164C: D1CB0093 84D48193
	v_fma_f32 v148, v148, s64, -v53                            // 000000021654: D1CB0094 84D48194
	v_fma_f32 v149, v149, s64, -v53                            // 00000002165C: D1CB0095 84D48195
	v_fma_f32 v150, v150, s64, -v53                            // 000000021664: D1CB0096 84D48196
	v_fma_f32 v151, v151, s64, -v53                            // 00000002166C: D1CB0097 84D48197
	v_fma_f32 v152, v152, s64, -v53                            // 000000021674: D1CB0098 84D48198
	v_fma_f32 v153, v153, s64, -v53                            // 00000002167C: D1CB0099 84D48199
	v_fma_f32 v154, v154, s64, -v53                            // 000000021684: D1CB009A 84D4819A
	v_fma_f32 v155, v155, s64, -v53                            // 00000002168C: D1CB009B 84D4819B
	v_fma_f32 v156, v156, s64, -v53                            // 000000021694: D1CB009C 84D4819C
	v_fma_f32 v157, v157, s64, -v53                            // 00000002169C: D1CB009D 84D4819D
	v_fma_f32 v158, v158, s64, -v53                            // 0000000216A4: D1CB009E 84D4819E
	v_fma_f32 v159, v159, s64, -v53                            // 0000000216AC: D1CB009F 84D4819F
	v_exp_f32_e32 v144, v144                                   // 0000000216B4: 7F204190
	v_exp_f32_e32 v145, v145                                   // 0000000216B8: 7F224191
	v_exp_f32_e32 v146, v146                                   // 0000000216BC: 7F244192
	v_exp_f32_e32 v147, v147                                   // 0000000216C0: 7F264193
	v_exp_f32_e32 v148, v148                                   // 0000000216C4: 7F284194
	v_exp_f32_e32 v149, v149                                   // 0000000216C8: 7F2A4195
	v_exp_f32_e32 v150, v150                                   // 0000000216CC: 7F2C4196
	v_exp_f32_e32 v151, v151                                   // 0000000216D0: 7F2E4197
	v_exp_f32_e32 v152, v152                                   // 0000000216D4: 7F304198
	v_exp_f32_e32 v153, v153                                   // 0000000216D8: 7F324199
	v_exp_f32_e32 v154, v154                                   // 0000000216DC: 7F34419A
	v_exp_f32_e32 v155, v155                                   // 0000000216E0: 7F36419B
	v_exp_f32_e32 v156, v156                                   // 0000000216E4: 7F38419C
	v_exp_f32_e32 v157, v157                                   // 0000000216E8: 7F3A419D
	v_exp_f32_e32 v158, v158                                   // 0000000216EC: 7F3C419E
	v_exp_f32_e32 v159, v159                                   // 0000000216F0: 7F3E419F
	v_mul_f32_dpp v240, v252, v144 quad_perm:[0,0,0,0] row_mask:0xf bank_mask:0xf// 0000000216F4: 0BE120FA FF0000FC
	v_mul_f32_dpp v241, v252, v145 quad_perm:[1,1,1,1] row_mask:0xf bank_mask:0xf// 0000000216FC: 0BE322FA FF0055FC
	v_mul_f32_dpp v242, v252, v146 quad_perm:[2,2,2,2] row_mask:0xf bank_mask:0xf// 000000021704: 0BE524FA FF00AAFC
	v_mul_f32_dpp v243, v252, v147 quad_perm:[3,3,3,3] row_mask:0xf bank_mask:0xf// 00000002170C: 0BE726FA FF00FFFC
	v_mul_f32_dpp v244, v253, v148 quad_perm:[0,0,0,0] row_mask:0xf bank_mask:0xf// 000000021714: 0BE928FA FF0000FD
	v_mul_f32_dpp v245, v253, v149 quad_perm:[1,1,1,1] row_mask:0xf bank_mask:0xf// 00000002171C: 0BEB2AFA FF0055FD
	v_mul_f32_dpp v246, v253, v150 quad_perm:[2,2,2,2] row_mask:0xf bank_mask:0xf// 000000021724: 0BED2CFA FF00AAFD
	v_mul_f32_dpp v247, v253, v151 quad_perm:[3,3,3,3] row_mask:0xf bank_mask:0xf// 00000002172C: 0BEF2EFA FF00FFFD
	v_mul_f32_dpp v248, v254, v152 quad_perm:[0,0,0,0] row_mask:0xf bank_mask:0xf// 000000021734: 0BF130FA FF0000FE
	v_mul_f32_dpp v249, v254, v153 quad_perm:[1,1,1,1] row_mask:0xf bank_mask:0xf// 00000002173C: 0BF332FA FF0055FE
	v_mul_f32_dpp v250, v254, v154 quad_perm:[2,2,2,2] row_mask:0xf bank_mask:0xf// 000000021744: 0BF534FA FF00AAFE
	v_mul_f32_dpp v251, v254, v155 quad_perm:[3,3,3,3] row_mask:0xf bank_mask:0xf// 00000002174C: 0BF736FA FF00FFFE
	v_mul_f32_dpp v252, v255, v156 quad_perm:[0,0,0,0] row_mask:0xf bank_mask:0xf// 000000021754: 0BF938FA FF0000FF
	v_mul_f32_dpp v253, v255, v157 quad_perm:[1,1,1,1] row_mask:0xf bank_mask:0xf// 00000002175C: 0BFB3AFA FF0055FF
	v_mul_f32_dpp v254, v255, v158 quad_perm:[2,2,2,2] row_mask:0xf bank_mask:0xf// 000000021764: 0BFD3CFA FF00AAFF
	v_mul_f32_dpp v255, v255, v159 quad_perm:[3,3,3,3] row_mask:0xf bank_mask:0xf// 00000002176C: 0BFF3EFA FF00FFFF
	v_mov_b32_e32 v48, 0x358637bd                              // 000000021774: 7E6002FF 358637BD
	v_max3_f32 v48, |v240|, |v241|, v48                        // 00000002177C: D1D30330 04C3E3F0
	v_max3_f32 v48, |v242|, |v243|, v48                        // 000000021784: D1D30330 04C3E7F2
	v_max3_f32 v48, |v244|, |v245|, v48                        // 00000002178C: D1D30330 04C3EBF4
	v_max3_f32 v48, |v246|, |v247|, v48                        // 000000021794: D1D30330 04C3EFF6
	v_max3_f32 v48, |v248|, |v249|, v48                        // 00000002179C: D1D30330 04C3F3F8
	v_max3_f32 v48, |v250|, |v251|, v48                        // 0000000217A4: D1D30330 04C3F7FA
	v_max3_f32 v48, |v252|, |v253|, v48                        // 0000000217AC: D1D30330 04C3FBFC
	v_max3_f32 v48, |v254|, |v255|, v48                        // 0000000217B4: D1D30330 04C3FFFE
	ds_write_b32 v8, v48 offset:20992                          // 0000000217BC: D81A5200 00003008
	v_sub_f32_e32 v51, v13, v15                                // 0000000217C4: 04661F0D
	v_cndmask_b32_e64 v51, v51, 0, s[40:41]                    // 0000000217C8: D1000033 00A10133
	v_mov_b32_e32 v13, v15                                     // 0000000217D0: 7E1A030F
	v_mul_f32_e32 v51, s64, v51                                // 0000000217D4: 0A666640
	v_exp_f32_e32 v51, v51                                     // 0000000217D8: 7E664133
	s_waitcnt lgkmcnt(0)                                       // 0000000217DC: BF8CC07F
	s_barrier                                                  // 0000000217E0: BF8A0000
	ds_read_b32 v64, v7 offset:20992                           // 0000000217E4: D86C5200 40000007
	ds_read_b32 v65, v7 offset:21056                           // 0000000217EC: D86C5240 41000007
	ds_read_b32 v66, v7 offset:21120                           // 0000000217F4: D86C5280 42000007
	ds_read_b32 v67, v7 offset:21184                           // 0000000217FC: D86C52C0 43000007
	ds_read_b32 v68, v7 offset:21248                           // 000000021804: D86C5300 44000007
	ds_read_b32 v69, v7 offset:21312                           // 00000002180C: D86C5340 45000007
	ds_read_b32 v70, v7 offset:21376                           // 000000021814: D86C5380 46000007
	ds_read_b32 v71, v7 offset:21440                           // 00000002181C: D86C53C0 47000007
	ds_read_b32 v72, v7 offset:21504                           // 000000021824: D86C5400 48000007
	ds_read_b32 v73, v7 offset:21568                           // 00000002182C: D86C5440 49000007
	ds_read_b32 v74, v7 offset:21632                           // 000000021834: D86C5480 4A000007
	ds_read_b32 v75, v7 offset:21696                           // 00000002183C: D86C54C0 4B000007
	ds_read_b32 v76, v7 offset:21760                           // 000000021844: D86C5500 4C000007
	ds_read_b32 v77, v7 offset:21824                           // 00000002184C: D86C5540 4D000007
	ds_read_b32 v78, v7 offset:21888                           // 000000021854: D86C5580 4E000007
	ds_read_b32 v79, v7 offset:21952                           // 00000002185C: D86C55C0 4F000007
	v_mul_f32_e32 v40, v51, v40                                // 000000021864: 0A505133
	v_mov_b32_e32 v15, v144                                    // 000000021868: 7E1E0390
	v_add_f32_e32 v15, v145, v15                               // 00000002186C: 021E1F91
	v_add_f32_e32 v15, v146, v15                               // 000000021870: 021E1F92
	v_add_f32_e32 v15, v147, v15                               // 000000021874: 021E1F93
	v_add_f32_e32 v15, v148, v15                               // 000000021878: 021E1F94
	v_add_f32_e32 v15, v149, v15                               // 00000002187C: 021E1F95
	v_add_f32_e32 v15, v150, v15                               // 000000021880: 021E1F96
	v_add_f32_e32 v15, v151, v15                               // 000000021884: 021E1F97
	v_add_f32_e32 v15, v152, v15                               // 000000021888: 021E1F98
	v_add_f32_e32 v15, v153, v15                               // 00000002188C: 021E1F99
	v_add_f32_e32 v15, v154, v15                               // 000000021890: 021E1F9A
	v_add_f32_e32 v15, v155, v15                               // 000000021894: 021E1F9B
	v_add_f32_e32 v15, v156, v15                               // 000000021898: 021E1F9C
	v_add_f32_e32 v15, v157, v15                               // 00000002189C: 021E1F9D
	v_add_f32_e32 v15, v158, v15                               // 0000000218A0: 021E1F9E
	v_add_f32_e32 v15, v159, v15                               // 0000000218A4: 021E1F9F
	v_add_f32_e32 v40, v15, v40                                // 0000000218A8: 0250510F
	s_waitcnt lgkmcnt(0)                                       // 0000000218AC: BF8CC07F
	v_max3_f32 v48, |v64|, |v65|, v48                          // 0000000218B0: D1D30330 04C28340
	v_max3_f32 v48, |v66|, |v67|, v48                          // 0000000218B8: D1D30330 04C28742
	v_max3_f32 v48, |v68|, |v69|, v48                          // 0000000218C0: D1D30330 04C28B44
	v_max3_f32 v48, |v70|, |v71|, v48                          // 0000000218C8: D1D30330 04C28F46
	v_max3_f32 v48, |v72|, |v73|, v48                          // 0000000218D0: D1D30330 04C29348
	v_max3_f32 v48, |v74|, |v75|, v48                          // 0000000218D8: D1D30330 04C2974A
	v_max3_f32 v48, |v76|, |v77|, v48                          // 0000000218E0: D1D30330 04C29B4C
	v_max3_f32 v48, |v78|, |v79|, v48                          // 0000000218E8: D1D30330 04C29F4E
	s_nop 2                                                    // 0000000218F0: BF800002
	v_rcp_f32_e32 v48, v48                                     // 0000000218F4: 7E604530
	s_nop 1                                                    // 0000000218F8: BF800001
	v_mul_f32_e32 v48, 0x42fe0000, v48                         // 0000000218FC: 0A6060FF 42FE0000
	v_mul_f32_e32 v144, v48, v240                              // 000000021904: 0B21E130
	v_mul_f32_e32 v145, v48, v241                              // 000000021908: 0B23E330
	v_mul_f32_e32 v146, v48, v242                              // 00000002190C: 0B25E530
	v_mul_f32_e32 v147, v48, v243                              // 000000021910: 0B27E730
	v_mul_f32_e32 v148, v48, v244                              // 000000021914: 0B29E930
	v_mul_f32_e32 v149, v48, v245                              // 000000021918: 0B2BEB30
	v_mul_f32_e32 v150, v48, v246                              // 00000002191C: 0B2DED30
	v_mul_f32_e32 v151, v48, v247                              // 000000021920: 0B2FEF30
	v_mul_f32_e32 v152, v48, v248                              // 000000021924: 0B31F130
	v_mul_f32_e32 v153, v48, v249                              // 000000021928: 0B33F330
	v_mul_f32_e32 v154, v48, v250                              // 00000002192C: 0B35F530
	v_mul_f32_e32 v155, v48, v251                              // 000000021930: 0B37F730
	v_mul_f32_e32 v156, v48, v252                              // 000000021934: 0B39F930
	v_mul_f32_e32 v157, v48, v253                              // 000000021938: 0B3BFB30
	v_mul_f32_e32 v158, v48, v254                              // 00000002193C: 0B3DFD30
	v_mul_f32_e32 v159, v48, v255                              // 000000021940: 0B3FFF30
	v_cvt_i32_f32_e32 v144, v144                               // 000000021944: 7F201190
	v_cvt_i32_f32_e32 v145, v145                               // 000000021948: 7F221191
	v_cvt_i32_f32_e32 v146, v146                               // 00000002194C: 7F241192
	v_cvt_i32_f32_e32 v147, v147                               // 000000021950: 7F261193
	v_cvt_i32_f32_e32 v148, v148                               // 000000021954: 7F281194
	v_cvt_i32_f32_e32 v149, v149                               // 000000021958: 7F2A1195
	v_cvt_i32_f32_e32 v150, v150                               // 00000002195C: 7F2C1196
	v_cvt_i32_f32_e32 v151, v151                               // 000000021960: 7F2E1197
	v_cvt_i32_f32_e32 v152, v152                               // 000000021964: 7F301198
	v_cvt_i32_f32_e32 v153, v153                               // 000000021968: 7F321199
	v_cvt_i32_f32_e32 v154, v154                               // 00000002196C: 7F34119A
	v_cvt_i32_f32_e32 v155, v155                               // 000000021970: 7F36119B
	v_cvt_i32_f32_e32 v156, v156                               // 000000021974: 7F38119C
	v_cvt_i32_f32_e32 v157, v157                               // 000000021978: 7F3A119D
	v_cvt_i32_f32_e32 v158, v158                               // 00000002197C: 7F3C119E
	v_cvt_i32_f32_e32 v159, v159                               // 000000021980: 7F3E119F
	v_perm_b32 v144, v145, v144, s53                           // 000000021984: D1ED0090 00D72191
	v_perm_b32 v144, v146, v144, s54                           // 00000002198C: D1ED0090 00DB2192
	v_perm_b32 v144, v147, v144, s55                           // 000000021994: D1ED0090 00DF2193
	v_perm_b32 v145, v149, v148, s53                           // 00000002199C: D1ED0091 00D72995
	v_perm_b32 v145, v150, v145, s54                           // 0000000219A4: D1ED0091 00DB2396
	v_perm_b32 v145, v151, v145, s55                           // 0000000219AC: D1ED0091 00DF2397
	v_perm_b32 v146, v153, v152, s53                           // 0000000219B4: D1ED0092 00D73199
	v_perm_b32 v146, v154, v146, s54                           // 0000000219BC: D1ED0092 00DB259A
	v_perm_b32 v146, v155, v146, s55                           // 0000000219C4: D1ED0092 00DF259B
	v_perm_b32 v147, v157, v156, s53                           // 0000000219CC: D1ED0093 00D7399D
	v_perm_b32 v147, v158, v147, s54                           // 0000000219D4: D1ED0093 00DB279E
	v_perm_b32 v147, v159, v147, s55                           // 0000000219DC: D1ED0093 00DF279F
	ds_write_b32 v10, v144 offset:33280                        // 0000000219E4: D81A8200 0000900A
	ds_write_b32 v10, v145 offset:34304                        // 0000000219EC: D81A8600 0000910A
	ds_write_b32 v10, v146 offset:35328                        // 0000000219F4: D81A8A00 0000920A
	ds_write_b32 v10, v147 offset:36352                        // 0000000219FC: D81A8E00 0000930A
	v_add_f32_e32 v224, v224, v192                             // 000000021A04: 03C181E0
	v_add_f32_e32 v225, v225, v193                             // 000000021A08: 03C383E1
	v_add_f32_e32 v226, v226, v194                             // 000000021A0C: 03C585E2
	v_add_f32_e32 v227, v227, v195                             // 000000021A10: 03C787E3
	v_add_f32_e32 v228, v228, v196                             // 000000021A14: 03C989E4
	v_add_f32_e32 v229, v229, v197                             // 000000021A18: 03CB8BE5
	v_add_f32_e32 v230, v230, v198                             // 000000021A1C: 03CD8DE6
	v_add_f32_e32 v231, v231, v199                             // 000000021A20: 03CF8FE7
	v_rcp_f32_e32 v46, v48                                     // 000000021A24: 7E5C4530
	s_waitcnt lgkmcnt(0)                                       // 000000021A28: BF8CC07F
	s_barrier                                                  // 000000021A2C: BF8A0000
	ds_read_b64 v[144:145], v9 offset:33280                    // 000000021A30: D8EC8200 90000009
	ds_read_b64 v[146:147], v9 offset:33408                    // 000000021A38: D8EC8280 92000009
	ds_read_b64 v[148:149], v9 offset:34304                    // 000000021A40: D8EC8600 94000009
	ds_read_b64 v[150:151], v9 offset:34432                    // 000000021A48: D8EC8680 96000009
	ds_read_b64 v[152:153], v9 offset:35328                    // 000000021A50: D8EC8A00 98000009
	ds_read_b64 v[154:155], v9 offset:35456                    // 000000021A58: D8EC8A80 9A000009
	ds_read_b64 v[156:157], v9 offset:36352                    // 000000021A60: D8EC8E00 9C000009
	ds_read_b64 v[158:159], v9 offset:36480                    // 000000021A68: D8EC8E80 9E000009
	v_mov_b32_dpp v64, v42 row_shr:4 row_mask:0xf bank_mask:0xf// 000000021A70: 7E8002FA FF01142A
	v_mov_b32_dpp v65, v42 row_shl:4 row_mask:0xf bank_mask:0xf// 000000021A78: 7E8202FA FF01042A
	v_cndmask_b32_e64 v248, v42, v64, s[44:45]                 // 000000021A80: D10000F8 00B2812A
	v_cndmask_b32_e64 v249, v65, v42, s[44:45]                 // 000000021A88: D10000F9 00B25541
	v_mov_b32_dpp v64, v248 row_shr:8 row_mask:0xf bank_mask:0xf// 000000021A90: 7E8002FA FF0118F8
	v_mov_b32_dpp v65, v248 row_shl:8 row_mask:0xf bank_mask:0xf// 000000021A98: 7E8202FA FF0108F8
	v_mov_b32_dpp v66, v249 row_shr:8 row_mask:0xf bank_mask:0xf// 000000021AA0: 7E8402FA FF0118F9
	v_mov_b32_dpp v67, v249 row_shl:8 row_mask:0xf bank_mask:0xf// 000000021AA8: 7E8602FA FF0108F9
	v_mov_b32_e32 v68, v248                                    // 000000021AB0: 7E8803F8
	v_mov_b32_e32 v69, v249                                    // 000000021AB4: 7E8A03F9
	v_cndmask_b32_e64 v248, v68, v64, s[42:43]                 // 000000021AB8: D10000F8 00AA8144
	v_cndmask_b32_e64 v250, v68, v65, s[78:79]                 // 000000021AC0: D10000FA 013A8344
	v_cndmask_b32_e64 v249, v69, v66, s[42:43]                 // 000000021AC8: D10000F9 00AA8545
	v_cndmask_b32_e64 v251, v69, v67, s[78:79]                 // 000000021AD0: D10000FB 013A8745
	v_mov_b32_dpp v64, v57 row_shr:4 row_mask:0xf bank_mask:0xf// 000000021AD8: 7E8002FA FF011439
	v_mov_b32_dpp v65, v57 row_shl:4 row_mask:0xf bank_mask:0xf// 000000021AE0: 7E8202FA FF010439
	v_cndmask_b32_e64 v252, v57, v64, s[44:45]                 // 000000021AE8: D10000FC 00B28139
	v_cndmask_b32_e64 v253, v65, v57, s[44:45]                 // 000000021AF0: D10000FD 00B27341
	v_mov_b32_dpp v64, v252 row_shr:8 row_mask:0xf bank_mask:0xf// 000000021AF8: 7E8002FA FF0118FC
	v_mov_b32_dpp v65, v252 row_shl:8 row_mask:0xf bank_mask:0xf// 000000021B00: 7E8202FA FF0108FC
	v_mov_b32_dpp v66, v253 row_shr:8 row_mask:0xf bank_mask:0xf// 000000021B08: 7E8402FA FF0118FD
	v_mov_b32_dpp v67, v253 row_shl:8 row_mask:0xf bank_mask:0xf// 000000021B10: 7E8602FA FF0108FD
	v_mov_b32_e32 v68, v252                                    // 000000021B18: 7E8803FC
	v_mov_b32_e32 v69, v253                                    // 000000021B1C: 7E8A03FD
	v_cndmask_b32_e64 v252, v68, v64, s[42:43]                 // 000000021B20: D10000FC 00AA8144
	v_cndmask_b32_e64 v254, v68, v65, s[78:79]                 // 000000021B28: D10000FE 013A8344
	v_cndmask_b32_e64 v253, v69, v66, s[42:43]                 // 000000021B30: D10000FD 00AA8545
	v_cndmask_b32_e64 v255, v69, v67, s[78:79]                 // 000000021B38: D10000FF 013A8745
	v_cvt_f32_i32_e32 v160, v160                               // 000000021B40: 7F400BA0
	v_cvt_f32_i32_e32 v161, v161                               // 000000021B44: 7F420BA1
	v_cvt_f32_i32_e32 v162, v162                               // 000000021B48: 7F440BA2
	v_cvt_f32_i32_e32 v163, v163                               // 000000021B4C: 7F460BA3
	v_cvt_f32_i32_e32 v164, v164                               // 000000021B50: 7F480BA4
	v_cvt_f32_i32_e32 v165, v165                               // 000000021B54: 7F4A0BA5
	v_cvt_f32_i32_e32 v166, v166                               // 000000021B58: 7F4C0BA6
	v_cvt_f32_i32_e32 v167, v167                               // 000000021B5C: 7F4E0BA7
	v_cvt_f32_i32_e32 v168, v168                               // 000000021B60: 7F500BA8
	v_cvt_f32_i32_e32 v169, v169                               // 000000021B64: 7F520BA9
	v_cvt_f32_i32_e32 v170, v170                               // 000000021B68: 7F540BAA
	v_cvt_f32_i32_e32 v171, v171                               // 000000021B6C: 7F560BAB
	v_cvt_f32_i32_e32 v172, v172                               // 000000021B70: 7F580BAC
	v_cvt_f32_i32_e32 v173, v173                               // 000000021B74: 7F5A0BAD
	v_cvt_f32_i32_e32 v174, v174                               // 000000021B78: 7F5C0BAE
	v_cvt_f32_i32_e32 v175, v175                               // 000000021B7C: 7F5E0BAF
	v_mul_f32_e32 v160, v21, v160                              // 000000021B80: 0B414115
	v_mul_f32_e32 v161, v21, v161                              // 000000021B84: 0B434315
	v_mul_f32_e32 v162, v21, v162                              // 000000021B88: 0B454515
	v_mul_f32_e32 v163, v21, v163                              // 000000021B8C: 0B474715
	v_mul_f32_e32 v164, v21, v164                              // 000000021B90: 0B494915
	v_mul_f32_e32 v165, v21, v165                              // 000000021B94: 0B4B4B15
	v_mul_f32_e32 v166, v21, v166                              // 000000021B98: 0B4D4D15
	v_mul_f32_e32 v167, v21, v167                              // 000000021B9C: 0B4F4F15
	v_mul_f32_e32 v168, v21, v168                              // 000000021BA0: 0B515115
	v_mul_f32_e32 v169, v21, v169                              // 000000021BA4: 0B535315
	v_mul_f32_e32 v170, v21, v170                              // 000000021BA8: 0B555515
	v_mul_f32_e32 v171, v21, v171                              // 000000021BAC: 0B575715
	v_mul_f32_e32 v172, v21, v172                              // 000000021BB0: 0B595915
	v_mul_f32_e32 v173, v21, v173                              // 000000021BB4: 0B5B5B15
	v_mul_f32_e32 v174, v21, v174                              // 000000021BB8: 0B5D5D15
	v_mul_f32_e32 v175, v21, v175                              // 000000021BBC: 0B5F5F15
	v_mul_f32_dpp v160, v248, v160 quad_perm:[0,0,0,0] row_mask:0xf bank_mask:0xf// 000000021BC0: 0B4140FA FF0000F8
	v_mul_f32_dpp v161, v248, v161 quad_perm:[1,1,1,1] row_mask:0xf bank_mask:0xf// 000000021BC8: 0B4342FA FF0055F8
	v_mul_f32_dpp v162, v248, v162 quad_perm:[2,2,2,2] row_mask:0xf bank_mask:0xf// 000000021BD0: 0B4544FA FF00AAF8
	v_mul_f32_dpp v163, v248, v163 quad_perm:[3,3,3,3] row_mask:0xf bank_mask:0xf// 000000021BD8: 0B4746FA FF00FFF8
	v_mul_f32_dpp v164, v249, v164 quad_perm:[0,0,0,0] row_mask:0xf bank_mask:0xf// 000000021BE0: 0B4948FA FF0000F9
	v_mul_f32_dpp v165, v249, v165 quad_perm:[1,1,1,1] row_mask:0xf bank_mask:0xf// 000000021BE8: 0B4B4AFA FF0055F9
	v_mul_f32_dpp v166, v249, v166 quad_perm:[2,2,2,2] row_mask:0xf bank_mask:0xf// 000000021BF0: 0B4D4CFA FF00AAF9
	v_mul_f32_dpp v167, v249, v167 quad_perm:[3,3,3,3] row_mask:0xf bank_mask:0xf// 000000021BF8: 0B4F4EFA FF00FFF9
	v_mul_f32_dpp v168, v250, v168 quad_perm:[0,0,0,0] row_mask:0xf bank_mask:0xf// 000000021C00: 0B5150FA FF0000FA
	v_mul_f32_dpp v169, v250, v169 quad_perm:[1,1,1,1] row_mask:0xf bank_mask:0xf// 000000021C08: 0B5352FA FF0055FA
	v_mul_f32_dpp v170, v250, v170 quad_perm:[2,2,2,2] row_mask:0xf bank_mask:0xf// 000000021C10: 0B5554FA FF00AAFA
	v_mul_f32_dpp v171, v250, v171 quad_perm:[3,3,3,3] row_mask:0xf bank_mask:0xf// 000000021C18: 0B5756FA FF00FFFA
	v_mul_f32_dpp v172, v251, v172 quad_perm:[0,0,0,0] row_mask:0xf bank_mask:0xf// 000000021C20: 0B5958FA FF0000FB
	v_mul_f32_dpp v173, v251, v173 quad_perm:[1,1,1,1] row_mask:0xf bank_mask:0xf// 000000021C28: 0B5B5AFA FF0055FB
	v_mul_f32_dpp v174, v251, v174 quad_perm:[2,2,2,2] row_mask:0xf bank_mask:0xf// 000000021C30: 0B5D5CFA FF00AAFB
	v_mul_f32_dpp v175, v251, v175 quad_perm:[3,3,3,3] row_mask:0xf bank_mask:0xf// 000000021C38: 0B5F5EFA FF00FFFB
	v_mov_b32_e32 v48, v160                                    // 000000021C40: 7E6003A0
	v_max3_f32 v48, v160, v161, v48                            // 000000021C44: D1D30030 04C343A0
	v_max3_f32 v48, v162, v163, v48                            // 000000021C4C: D1D30030 04C347A2
	v_max3_f32 v48, v164, v165, v48                            // 000000021C54: D1D30030 04C34BA4
	v_max3_f32 v48, v166, v167, v48                            // 000000021C5C: D1D30030 04C34FA6
	v_max3_f32 v48, v168, v169, v48                            // 000000021C64: D1D30030 04C353A8
	v_max3_f32 v48, v170, v171, v48                            // 000000021C6C: D1D30030 04C357AA
	v_max3_f32 v48, v172, v173, v48                            // 000000021C74: D1D30030 04C35BAC
	v_max3_f32 v48, v174, v175, v48                            // 000000021C7C: D1D30030 04C35FAE
	ds_write_b32 v8, v48 offset:16896                          // 000000021C84: D81A4200 00003008
	v_mul_f32_e32 v232, v52, v232                              // 000000021C8C: 0BD1D134
	v_mul_f32_e32 v233, v52, v233                              // 000000021C90: 0BD3D334
	v_mul_f32_e32 v234, v52, v234                              // 000000021C94: 0BD5D534
	v_mul_f32_e32 v235, v52, v235                              // 000000021C98: 0BD7D734
	v_mul_f32_e32 v236, v52, v236                              // 000000021C9C: 0BD9D934
	v_mul_f32_e32 v237, v52, v237                              // 000000021CA0: 0BDBDB34
	v_mul_f32_e32 v238, v52, v238                              // 000000021CA4: 0BDDDD34
	v_mul_f32_e32 v239, v52, v239                              // 000000021CA8: 0BDFDF34
	s_waitcnt lgkmcnt(0)                                       // 000000021CAC: BF8CC07F
	s_barrier                                                  // 000000021CB0: BF8A0000
	ds_read_b32 v64, v7 offset:16896                           // 000000021CB4: D86C4200 40000007
	ds_read_b32 v65, v7 offset:16960                           // 000000021CBC: D86C4240 41000007
	ds_read_b32 v66, v7 offset:17024                           // 000000021CC4: D86C4280 42000007
	ds_read_b32 v67, v7 offset:17088                           // 000000021CCC: D86C42C0 43000007
	ds_read_b32 v68, v7 offset:17152                           // 000000021CD4: D86C4300 44000007
	ds_read_b32 v69, v7 offset:17216                           // 000000021CDC: D86C4340 45000007
	ds_read_b32 v70, v7 offset:17280                           // 000000021CE4: D86C4380 46000007
	ds_read_b32 v71, v7 offset:17344                           // 000000021CEC: D86C43C0 47000007
	ds_read_b32 v72, v7 offset:17408                           // 000000021CF4: D86C4400 48000007
	ds_read_b32 v73, v7 offset:17472                           // 000000021CFC: D86C4440 49000007
	ds_read_b32 v74, v7 offset:17536                           // 000000021D04: D86C4480 4A000007
	ds_read_b32 v75, v7 offset:17600                           // 000000021D0C: D86C44C0 4B000007
	ds_read_b32 v76, v7 offset:17664                           // 000000021D14: D86C4500 4C000007
	ds_read_b32 v77, v7 offset:17728                           // 000000021D1C: D86C4540 4D000007
	ds_read_b32 v78, v7 offset:17792                           // 000000021D24: D86C4580 4E000007
	ds_read_b32 v79, v7 offset:17856                           // 000000021D2C: D86C45C0 4F000007
	v_cvt_f32_i32_e32 v200, v200                               // 000000021D34: 7F900BC8
	v_cvt_f32_i32_e32 v201, v201                               // 000000021D38: 7F920BC9
	v_cvt_f32_i32_e32 v202, v202                               // 000000021D3C: 7F940BCA
	v_cvt_f32_i32_e32 v203, v203                               // 000000021D40: 7F960BCB
	v_cvt_f32_i32_e32 v204, v204                               // 000000021D44: 7F980BCC
	v_cvt_f32_i32_e32 v205, v205                               // 000000021D48: 7F9A0BCD
	v_cvt_f32_i32_e32 v206, v206                               // 000000021D4C: 7F9C0BCE
	v_cvt_f32_i32_e32 v207, v207                               // 000000021D50: 7F9E0BCF
	v_mul_f32_e32 v200, v47, v200                              // 000000021D54: 0B91912F
	v_mul_f32_e32 v201, v47, v201                              // 000000021D58: 0B93932F
	v_mul_f32_e32 v202, v47, v202                              // 000000021D5C: 0B95952F
	v_mul_f32_e32 v203, v47, v203                              // 000000021D60: 0B97972F
	v_mul_f32_e32 v204, v47, v204                              // 000000021D64: 0B99992F
	v_mul_f32_e32 v205, v47, v205                              // 000000021D68: 0B9B9B2F
	v_mul_f32_e32 v206, v47, v206                              // 000000021D6C: 0B9D9D2F
	v_mul_f32_e32 v207, v47, v207                              // 000000021D70: 0B9F9F2F
	s_waitcnt lgkmcnt(0)                                       // 000000021D74: BF8CC07F
	v_max3_f32 v48, v64, v65, v48                              // 000000021D78: D1D30030 04C28340
	v_max3_f32 v48, v66, v67, v48                              // 000000021D80: D1D30030 04C28742
	v_max3_f32 v48, v68, v69, v48                              // 000000021D88: D1D30030 04C28B44
	v_max3_f32 v48, v70, v71, v48                              // 000000021D90: D1D30030 04C28F46
	v_max3_f32 v48, v72, v73, v48                              // 000000021D98: D1D30030 04C29348
	v_max3_f32 v48, v74, v75, v48                              // 000000021DA0: D1D30030 04C2974A
	v_max3_f32 v48, v76, v77, v48                              // 000000021DA8: D1D30030 04C29B4C
	v_max3_f32 v48, v78, v79, v48                              // 000000021DB0: D1D30030 04C29F4E
	v_mov_b32_e32 v64, 0xff800000                              // 000000021DB8: 7E8002FF FF800000
	v_cmp_eq_u32_e64 s[40:41], v64, v14                        // 000000021DC0: D0CA0028 00021D40
	s_nop 1                                                    // 000000021DC8: BF800001
	v_max_f32_e32 v15, v48, v14                                // 000000021DCC: 161E1D30
	v_mul_f32_e32 v53, s64, v15                                // 000000021DD0: 0A6A1E40
	v_fma_f32 v160, v160, s64, -v53                            // 000000021DD4: D1CB00A0 84D481A0
	v_fma_f32 v161, v161, s64, -v53                            // 000000021DDC: D1CB00A1 84D481A1
	v_fma_f32 v162, v162, s64, -v53                            // 000000021DE4: D1CB00A2 84D481A2
	v_fma_f32 v163, v163, s64, -v53                            // 000000021DEC: D1CB00A3 84D481A3
	v_fma_f32 v164, v164, s64, -v53                            // 000000021DF4: D1CB00A4 84D481A4
	v_fma_f32 v165, v165, s64, -v53                            // 000000021DFC: D1CB00A5 84D481A5
	v_fma_f32 v166, v166, s64, -v53                            // 000000021E04: D1CB00A6 84D481A6
	v_fma_f32 v167, v167, s64, -v53                            // 000000021E0C: D1CB00A7 84D481A7
	v_fma_f32 v168, v168, s64, -v53                            // 000000021E14: D1CB00A8 84D481A8
	v_fma_f32 v169, v169, s64, -v53                            // 000000021E1C: D1CB00A9 84D481A9
	v_fma_f32 v170, v170, s64, -v53                            // 000000021E24: D1CB00AA 84D481AA
	v_fma_f32 v171, v171, s64, -v53                            // 000000021E2C: D1CB00AB 84D481AB
	v_fma_f32 v172, v172, s64, -v53                            // 000000021E34: D1CB00AC 84D481AC
	v_fma_f32 v173, v173, s64, -v53                            // 000000021E3C: D1CB00AD 84D481AD
	v_fma_f32 v174, v174, s64, -v53                            // 000000021E44: D1CB00AE 84D481AE
	v_fma_f32 v175, v175, s64, -v53                            // 000000021E4C: D1CB00AF 84D481AF
	v_exp_f32_e32 v160, v160                                   // 000000021E54: 7F4041A0
	v_exp_f32_e32 v161, v161                                   // 000000021E58: 7F4241A1
	v_exp_f32_e32 v162, v162                                   // 000000021E5C: 7F4441A2
	v_exp_f32_e32 v163, v163                                   // 000000021E60: 7F4641A3
	v_exp_f32_e32 v164, v164                                   // 000000021E64: 7F4841A4
	v_exp_f32_e32 v165, v165                                   // 000000021E68: 7F4A41A5
	v_exp_f32_e32 v166, v166                                   // 000000021E6C: 7F4C41A6
	v_exp_f32_e32 v167, v167                                   // 000000021E70: 7F4E41A7
	v_exp_f32_e32 v168, v168                                   // 000000021E74: 7F5041A8
	v_exp_f32_e32 v169, v169                                   // 000000021E78: 7F5241A9
	v_exp_f32_e32 v170, v170                                   // 000000021E7C: 7F5441AA
	v_exp_f32_e32 v171, v171                                   // 000000021E80: 7F5641AB
	v_exp_f32_e32 v172, v172                                   // 000000021E84: 7F5841AC
	v_exp_f32_e32 v173, v173                                   // 000000021E88: 7F5A41AD
	v_exp_f32_e32 v174, v174                                   // 000000021E8C: 7F5C41AE
	v_exp_f32_e32 v175, v175                                   // 000000021E90: 7F5E41AF
	v_mul_f32_dpp v240, v252, v160 quad_perm:[0,0,0,0] row_mask:0xf bank_mask:0xf// 000000021E94: 0BE140FA FF0000FC
	v_mul_f32_dpp v241, v252, v161 quad_perm:[1,1,1,1] row_mask:0xf bank_mask:0xf// 000000021E9C: 0BE342FA FF0055FC
	v_mul_f32_dpp v242, v252, v162 quad_perm:[2,2,2,2] row_mask:0xf bank_mask:0xf// 000000021EA4: 0BE544FA FF00AAFC
	v_mul_f32_dpp v243, v252, v163 quad_perm:[3,3,3,3] row_mask:0xf bank_mask:0xf// 000000021EAC: 0BE746FA FF00FFFC
	v_mul_f32_dpp v244, v253, v164 quad_perm:[0,0,0,0] row_mask:0xf bank_mask:0xf// 000000021EB4: 0BE948FA FF0000FD
	v_mul_f32_dpp v245, v253, v165 quad_perm:[1,1,1,1] row_mask:0xf bank_mask:0xf// 000000021EBC: 0BEB4AFA FF0055FD
	v_mul_f32_dpp v246, v253, v166 quad_perm:[2,2,2,2] row_mask:0xf bank_mask:0xf// 000000021EC4: 0BED4CFA FF00AAFD
	v_mul_f32_dpp v247, v253, v167 quad_perm:[3,3,3,3] row_mask:0xf bank_mask:0xf// 000000021ECC: 0BEF4EFA FF00FFFD
	v_mul_f32_dpp v248, v254, v168 quad_perm:[0,0,0,0] row_mask:0xf bank_mask:0xf// 000000021ED4: 0BF150FA FF0000FE
	v_mul_f32_dpp v249, v254, v169 quad_perm:[1,1,1,1] row_mask:0xf bank_mask:0xf// 000000021EDC: 0BF352FA FF0055FE
	v_mul_f32_dpp v250, v254, v170 quad_perm:[2,2,2,2] row_mask:0xf bank_mask:0xf// 000000021EE4: 0BF554FA FF00AAFE
	v_mul_f32_dpp v251, v254, v171 quad_perm:[3,3,3,3] row_mask:0xf bank_mask:0xf// 000000021EEC: 0BF756FA FF00FFFE
	v_mul_f32_dpp v252, v255, v172 quad_perm:[0,0,0,0] row_mask:0xf bank_mask:0xf// 000000021EF4: 0BF958FA FF0000FF
	v_mul_f32_dpp v253, v255, v173 quad_perm:[1,1,1,1] row_mask:0xf bank_mask:0xf// 000000021EFC: 0BFB5AFA FF0055FF
	v_mul_f32_dpp v254, v255, v174 quad_perm:[2,2,2,2] row_mask:0xf bank_mask:0xf// 000000021F04: 0BFD5CFA FF00AAFF
	v_mul_f32_dpp v255, v255, v175 quad_perm:[3,3,3,3] row_mask:0xf bank_mask:0xf// 000000021F0C: 0BFF5EFA FF00FFFF
	v_mov_b32_e32 v48, 0x358637bd                              // 000000021F14: 7E6002FF 358637BD
	v_max3_f32 v48, |v240|, |v241|, v48                        // 000000021F1C: D1D30330 04C3E3F0
	v_max3_f32 v48, |v242|, |v243|, v48                        // 000000021F24: D1D30330 04C3E7F2
	v_max3_f32 v48, |v244|, |v245|, v48                        // 000000021F2C: D1D30330 04C3EBF4
	v_max3_f32 v48, |v246|, |v247|, v48                        // 000000021F34: D1D30330 04C3EFF6
	v_max3_f32 v48, |v248|, |v249|, v48                        // 000000021F3C: D1D30330 04C3F3F8
	v_max3_f32 v48, |v250|, |v251|, v48                        // 000000021F44: D1D30330 04C3F7FA
	v_max3_f32 v48, |v252|, |v253|, v48                        // 000000021F4C: D1D30330 04C3FBFC
	v_max3_f32 v48, |v254|, |v255|, v48                        // 000000021F54: D1D30330 04C3FFFE
	ds_write_b32 v8, v48 offset:20992                          // 000000021F5C: D81A5200 00003008
	v_sub_f32_e32 v52, v14, v15                                // 000000021F64: 04681F0E
	v_cndmask_b32_e64 v52, v52, 0, s[40:41]                    // 000000021F68: D1000034 00A10134
	v_mov_b32_e32 v14, v15                                     // 000000021F70: 7E1C030F
	v_mul_f32_e32 v52, s64, v52                                // 000000021F74: 0A686840
	v_exp_f32_e32 v52, v52                                     // 000000021F78: 7E684134
	s_waitcnt lgkmcnt(0)                                       // 000000021F7C: BF8CC07F
	s_barrier                                                  // 000000021F80: BF8A0000
	ds_read_b32 v64, v7 offset:20992                           // 000000021F84: D86C5200 40000007
	ds_read_b32 v65, v7 offset:21056                           // 000000021F8C: D86C5240 41000007
	ds_read_b32 v66, v7 offset:21120                           // 000000021F94: D86C5280 42000007
	ds_read_b32 v67, v7 offset:21184                           // 000000021F9C: D86C52C0 43000007
	ds_read_b32 v68, v7 offset:21248                           // 000000021FA4: D86C5300 44000007
	ds_read_b32 v69, v7 offset:21312                           // 000000021FAC: D86C5340 45000007
	ds_read_b32 v70, v7 offset:21376                           // 000000021FB4: D86C5380 46000007
	ds_read_b32 v71, v7 offset:21440                           // 000000021FBC: D86C53C0 47000007
	ds_read_b32 v72, v7 offset:21504                           // 000000021FC4: D86C5400 48000007
	ds_read_b32 v73, v7 offset:21568                           // 000000021FCC: D86C5440 49000007
	ds_read_b32 v74, v7 offset:21632                           // 000000021FD4: D86C5480 4A000007
	ds_read_b32 v75, v7 offset:21696                           // 000000021FDC: D86C54C0 4B000007
	ds_read_b32 v76, v7 offset:21760                           // 000000021FE4: D86C5500 4C000007
	ds_read_b32 v77, v7 offset:21824                           // 000000021FEC: D86C5540 4D000007
	ds_read_b32 v78, v7 offset:21888                           // 000000021FF4: D86C5580 4E000007
	ds_read_b32 v79, v7 offset:21952                           // 000000021FFC: D86C55C0 4F000007
	v_mul_f32_e32 v41, v52, v41                                // 000000022004: 0A525334
	v_mov_b32_e32 v15, v160                                    // 000000022008: 7E1E03A0
	v_add_f32_e32 v15, v161, v15                               // 00000002200C: 021E1FA1
	v_add_f32_e32 v15, v162, v15                               // 000000022010: 021E1FA2
	v_add_f32_e32 v15, v163, v15                               // 000000022014: 021E1FA3
	v_add_f32_e32 v15, v164, v15                               // 000000022018: 021E1FA4
	v_add_f32_e32 v15, v165, v15                               // 00000002201C: 021E1FA5
	v_add_f32_e32 v15, v166, v15                               // 000000022020: 021E1FA6
	v_add_f32_e32 v15, v167, v15                               // 000000022024: 021E1FA7
	v_add_f32_e32 v15, v168, v15                               // 000000022028: 021E1FA8
	v_add_f32_e32 v15, v169, v15                               // 00000002202C: 021E1FA9
	v_add_f32_e32 v15, v170, v15                               // 000000022030: 021E1FAA
	v_add_f32_e32 v15, v171, v15                               // 000000022034: 021E1FAB
	v_add_f32_e32 v15, v172, v15                               // 000000022038: 021E1FAC
	v_add_f32_e32 v15, v173, v15                               // 00000002203C: 021E1FAD
	v_add_f32_e32 v15, v174, v15                               // 000000022040: 021E1FAE
	v_add_f32_e32 v15, v175, v15                               // 000000022044: 021E1FAF
	v_add_f32_e32 v41, v15, v41                                // 000000022048: 0252530F
	s_waitcnt lgkmcnt(0)                                       // 00000002204C: BF8CC07F
	v_max3_f32 v48, |v64|, |v65|, v48                          // 000000022050: D1D30330 04C28340
	v_max3_f32 v48, |v66|, |v67|, v48                          // 000000022058: D1D30330 04C28742
	v_max3_f32 v48, |v68|, |v69|, v48                          // 000000022060: D1D30330 04C28B44
	v_max3_f32 v48, |v70|, |v71|, v48                          // 000000022068: D1D30330 04C28F46
	v_max3_f32 v48, |v72|, |v73|, v48                          // 000000022070: D1D30330 04C29348
	v_max3_f32 v48, |v74|, |v75|, v48                          // 000000022078: D1D30330 04C2974A
	v_max3_f32 v48, |v76|, |v77|, v48                          // 000000022080: D1D30330 04C29B4C
	v_max3_f32 v48, |v78|, |v79|, v48                          // 000000022088: D1D30330 04C29F4E
	s_nop 2                                                    // 000000022090: BF800002
	v_rcp_f32_e32 v48, v48                                     // 000000022094: 7E604530
	s_nop 1                                                    // 000000022098: BF800001
	v_mul_f32_e32 v48, 0x42fe0000, v48                         // 00000002209C: 0A6060FF 42FE0000
	v_mul_f32_e32 v160, v48, v240                              // 0000000220A4: 0B41E130
	v_mul_f32_e32 v161, v48, v241                              // 0000000220A8: 0B43E330
	v_mul_f32_e32 v162, v48, v242                              // 0000000220AC: 0B45E530
	v_mul_f32_e32 v163, v48, v243                              // 0000000220B0: 0B47E730
	v_mul_f32_e32 v164, v48, v244                              // 0000000220B4: 0B49E930
	v_mul_f32_e32 v165, v48, v245                              // 0000000220B8: 0B4BEB30
	v_mul_f32_e32 v166, v48, v246                              // 0000000220BC: 0B4DED30
	v_mul_f32_e32 v167, v48, v247                              // 0000000220C0: 0B4FEF30
	v_mul_f32_e32 v168, v48, v248                              // 0000000220C4: 0B51F130
	v_mul_f32_e32 v169, v48, v249                              // 0000000220C8: 0B53F330
	v_mul_f32_e32 v170, v48, v250                              // 0000000220CC: 0B55F530
	v_mul_f32_e32 v171, v48, v251                              // 0000000220D0: 0B57F730
	v_mul_f32_e32 v172, v48, v252                              // 0000000220D4: 0B59F930
	v_mul_f32_e32 v173, v48, v253                              // 0000000220D8: 0B5BFB30
	v_mul_f32_e32 v174, v48, v254                              // 0000000220DC: 0B5DFD30
	v_mul_f32_e32 v175, v48, v255                              // 0000000220E0: 0B5FFF30
	v_cvt_i32_f32_e32 v160, v160                               // 0000000220E4: 7F4011A0
	v_cvt_i32_f32_e32 v161, v161                               // 0000000220E8: 7F4211A1
	v_cvt_i32_f32_e32 v162, v162                               // 0000000220EC: 7F4411A2
	v_cvt_i32_f32_e32 v163, v163                               // 0000000220F0: 7F4611A3
	v_cvt_i32_f32_e32 v164, v164                               // 0000000220F4: 7F4811A4
	v_cvt_i32_f32_e32 v165, v165                               // 0000000220F8: 7F4A11A5
	v_cvt_i32_f32_e32 v166, v166                               // 0000000220FC: 7F4C11A6
	v_cvt_i32_f32_e32 v167, v167                               // 000000022100: 7F4E11A7
	v_cvt_i32_f32_e32 v168, v168                               // 000000022104: 7F5011A8
	v_cvt_i32_f32_e32 v169, v169                               // 000000022108: 7F5211A9
	v_cvt_i32_f32_e32 v170, v170                               // 00000002210C: 7F5411AA
	v_cvt_i32_f32_e32 v171, v171                               // 000000022110: 7F5611AB
	v_cvt_i32_f32_e32 v172, v172                               // 000000022114: 7F5811AC
	v_cvt_i32_f32_e32 v173, v173                               // 000000022118: 7F5A11AD
	v_cvt_i32_f32_e32 v174, v174                               // 00000002211C: 7F5C11AE
	v_cvt_i32_f32_e32 v175, v175                               // 000000022120: 7F5E11AF
	v_perm_b32 v160, v161, v160, s53                           // 000000022124: D1ED00A0 00D741A1
	v_perm_b32 v160, v162, v160, s54                           // 00000002212C: D1ED00A0 00DB41A2
	v_perm_b32 v160, v163, v160, s55                           // 000000022134: D1ED00A0 00DF41A3
	v_perm_b32 v161, v165, v164, s53                           // 00000002213C: D1ED00A1 00D749A5
	v_perm_b32 v161, v166, v161, s54                           // 000000022144: D1ED00A1 00DB43A6
	v_perm_b32 v161, v167, v161, s55                           // 00000002214C: D1ED00A1 00DF43A7
	v_perm_b32 v162, v169, v168, s53                           // 000000022154: D1ED00A2 00D751A9
	v_perm_b32 v162, v170, v162, s54                           // 00000002215C: D1ED00A2 00DB45AA
	v_perm_b32 v162, v171, v162, s55                           // 000000022164: D1ED00A2 00DF45AB
	v_perm_b32 v163, v173, v172, s53                           // 00000002216C: D1ED00A3 00D759AD
	v_perm_b32 v163, v174, v163, s54                           // 000000022174: D1ED00A3 00DB47AE
	v_perm_b32 v163, v175, v163, s55                           // 00000002217C: D1ED00A3 00DF47AF
	ds_write_b32 v10, v160 offset:37376                        // 000000022184: D81A9200 0000A00A
	ds_write_b32 v10, v161 offset:38400                        // 00000002218C: D81A9600 0000A10A
	ds_write_b32 v10, v162 offset:39424                        // 000000022194: D81A9A00 0000A20A
	ds_write_b32 v10, v163 offset:40448                        // 00000002219C: D81A9E00 0000A30A
	v_add_f32_e32 v232, v232, v200                             // 0000000221A4: 03D191E8
	v_add_f32_e32 v233, v233, v201                             // 0000000221A8: 03D393E9
	v_add_f32_e32 v234, v234, v202                             // 0000000221AC: 03D595EA
	v_add_f32_e32 v235, v235, v203                             // 0000000221B0: 03D797EB
	v_add_f32_e32 v236, v236, v204                             // 0000000221B4: 03D999EC
	v_add_f32_e32 v237, v237, v205                             // 0000000221B8: 03DB9BED
	v_add_f32_e32 v238, v238, v206                             // 0000000221BC: 03DD9DEE
	v_add_f32_e32 v239, v239, v207                             // 0000000221C0: 03DF9FEF
	v_rcp_f32_e32 v47, v48                                     // 0000000221C4: 7E5E4530
	s_waitcnt lgkmcnt(0)                                       // 0000000221C8: BF8CC07F
	s_barrier                                                  // 0000000221CC: BF8A0000
	ds_read_b64 v[160:161], v9 offset:37376                    // 0000000221D0: D8EC9200 A0000009
	ds_read_b64 v[162:163], v9 offset:37504                    // 0000000221D8: D8EC9280 A2000009
	ds_read_b64 v[164:165], v9 offset:38400                    // 0000000221E0: D8EC9600 A4000009
	ds_read_b64 v[166:167], v9 offset:38528                    // 0000000221E8: D8EC9680 A6000009
	ds_read_b64 v[168:169], v9 offset:39424                    // 0000000221F0: D8EC9A00 A8000009
	ds_read_b64 v[170:171], v9 offset:39552                    // 0000000221F8: D8EC9A80 AA000009
	ds_read_b64 v[172:173], v9 offset:40448                    // 000000022200: D8EC9E00 AC000009
	ds_read_b64 v[174:175], v9 offset:40576                    // 000000022208: D8EC9E80 AE000009
	s_waitcnt vmcnt(15)                                        // 000000022210: BF8C0F7F
	v_mfma_i32_16x16x32_i8 v[176:179], a[64:65], v[112:113], 0 // 000000022214: D3D700B0 0A02E140
	buffer_load_dwordx4 a[112:115], v34, s[20:23], 0 offen offset:1024// 00000002221C: E05C1400 80857022
	v_mfma_i32_16x16x32_i8 v[176:179], a[66:67], v[114:115], v[176:179]// 000000022224: D3D700B0 0EC2E542
	v_mfma_i32_16x16x32_i8 v[176:179], a[68:69], v[116:117], v[176:179]// 00000002222C: D3D700B0 0EC2E944
	v_mfma_i32_16x16x32_i8 v[176:179], a[70:71], v[118:119], v[176:179]// 000000022234: D3D700B0 0EC2ED46
	v_mfma_i32_16x16x32_i8 v[176:179], a[72:73], v[120:121], v[176:179]// 00000002223C: D3D700B0 0EC2F148
	buffer_load_dwordx4 a[116:119], v35, s[20:23], 0 offen offset:1024// 000000022244: E05C1400 80857423
	v_mfma_i32_16x16x32_i8 v[176:179], a[74:75], v[122:123], v[176:179]// 00000002224C: D3D700B0 0EC2F54A
	v_mfma_i32_16x16x32_i8 v[176:179], a[76:77], v[124:125], v[176:179]// 000000022254: D3D700B0 0EC2F94C
	v_mfma_i32_16x16x32_i8 v[176:179], a[78:79], v[126:127], v[176:179]// 00000002225C: D3D700B0 0EC2FD4E
	v_mfma_i32_16x16x32_i8 v[180:183], a[80:81], v[112:113], 0 // 000000022264: D3D700B4 0A02E150
	buffer_load_dwordx4 a[120:123], v36, s[20:23], 0 offen offset:1024// 00000002226C: E05C1400 80857824
	v_mfma_i32_16x16x32_i8 v[180:183], a[82:83], v[114:115], v[180:183]// 000000022274: D3D700B4 0ED2E552
	v_mfma_i32_16x16x32_i8 v[180:183], a[84:85], v[116:117], v[180:183]// 00000002227C: D3D700B4 0ED2E954
	v_mfma_i32_16x16x32_i8 v[180:183], a[86:87], v[118:119], v[180:183]// 000000022284: D3D700B4 0ED2ED56
	v_mfma_i32_16x16x32_i8 v[180:183], a[88:89], v[120:121], v[180:183]// 00000002228C: D3D700B4 0ED2F158
	buffer_load_dwordx4 a[124:127], v37, s[20:23], 0 offen offset:1024// 000000022294: E05C1400 80857C25
	v_mfma_i32_16x16x32_i8 v[180:183], a[90:91], v[122:123], v[180:183]// 00000002229C: D3D700B4 0ED2F55A
	v_mfma_i32_16x16x32_i8 v[180:183], a[92:93], v[124:125], v[180:183]// 0000000222A4: D3D700B4 0ED2F95C
	s_lshr_b32 s57, s70, 4                                     // 0000000222AC: 8F398446
	s_add_u32 s57, 48, s57                                     // 0000000222B0: 803939B0
	v_mfma_i32_16x16x32_i8 v[180:183], a[94:95], v[126:127], v[180:183]// 0000000222B4: D3D700B4 0ED2FD5E
	s_cmp_ge_u32 s57, s73                                      // 0000000222BC: BF094939
	s_cselect_b32 s56, 0, s56                                  // 0000000222C0: 85383880
	v_mfma_i32_16x16x32_i8 v[184:187], a[64:65], v[128:129], 0 // 0000000222C4: D3D700B8 0A030140
	v_mfma_i32_16x16x32_i8 v[184:187], a[66:67], v[130:131], v[184:187]// 0000000222CC: D3D700B8 0EE30542
	v_mfma_i32_16x16x32_i8 v[184:187], a[68:69], v[132:133], v[184:187]// 0000000222D4: D3D700B8 0EE30944
	v_mfma_i32_16x16x32_i8 v[184:187], a[70:71], v[134:135], v[184:187]// 0000000222DC: D3D700B8 0EE30D46
	v_mfma_i32_16x16x32_i8 v[184:187], a[72:73], v[136:137], v[184:187]// 0000000222E4: D3D700B8 0EE31148
	v_mfma_i32_16x16x32_i8 v[184:187], a[74:75], v[138:139], v[184:187]// 0000000222EC: D3D700B8 0EE3154A
	v_mfma_i32_16x16x32_i8 v[184:187], a[76:77], v[140:141], v[184:187]// 0000000222F4: D3D700B8 0EE3194C
	v_mfma_i32_16x16x32_i8 v[184:187], a[78:79], v[142:143], v[184:187]// 0000000222FC: D3D700B8 0EE31D4E
	v_mfma_i32_16x16x32_i8 v[188:191], a[80:81], v[128:129], 0 // 000000022304: D3D700BC 0A030150
	v_mfma_i32_16x16x32_i8 v[188:191], a[82:83], v[130:131], v[188:191]// 00000002230C: D3D700BC 0EF30552
	v_mfma_i32_16x16x32_i8 v[188:191], a[84:85], v[132:133], v[188:191]// 000000022314: D3D700BC 0EF30954
	v_mfma_i32_16x16x32_i8 v[188:191], a[86:87], v[134:135], v[188:191]// 00000002231C: D3D700BC 0EF30D56
	v_mfma_i32_16x16x32_i8 v[188:191], a[88:89], v[136:137], v[188:191]// 000000022324: D3D700BC 0EF31158
	v_mfma_i32_16x16x32_i8 v[188:191], a[90:91], v[138:139], v[188:191]// 00000002232C: D3D700BC 0EF3155A
	v_mfma_i32_16x16x32_i8 v[188:191], a[92:93], v[140:141], v[188:191]// 000000022334: D3D700BC 0EF3195C
	v_mfma_i32_16x16x32_i8 v[188:191], a[94:95], v[142:143], v[188:191]// 00000002233C: D3D700BC 0EF31D5E
	v_mfma_i32_16x16x32_i8 v[192:195], a[64:65], v[144:145], 0 // 000000022344: D3D700C0 0A032140
	v_mfma_i32_16x16x32_i8 v[192:195], a[66:67], v[146:147], v[192:195]// 00000002234C: D3D700C0 0F032542
	v_mfma_i32_16x16x32_i8 v[192:195], a[68:69], v[148:149], v[192:195]// 000000022354: D3D700C0 0F032944
	v_mfma_i32_16x16x32_i8 v[192:195], a[70:71], v[150:151], v[192:195]// 00000002235C: D3D700C0 0F032D46
	v_mfma_i32_16x16x32_i8 v[192:195], a[72:73], v[152:153], v[192:195]// 000000022364: D3D700C0 0F033148
	v_mfma_i32_16x16x32_i8 v[192:195], a[74:75], v[154:155], v[192:195]// 00000002236C: D3D700C0 0F03354A
	v_mfma_i32_16x16x32_i8 v[192:195], a[76:77], v[156:157], v[192:195]// 000000022374: D3D700C0 0F03394C
	v_mfma_i32_16x16x32_i8 v[192:195], a[78:79], v[158:159], v[192:195]// 00000002237C: D3D700C0 0F033D4E
	v_mfma_i32_16x16x32_i8 v[196:199], a[80:81], v[144:145], 0 // 000000022384: D3D700C4 0A032150
	v_mfma_i32_16x16x32_i8 v[196:199], a[82:83], v[146:147], v[196:199]// 00000002238C: D3D700C4 0F132552
	v_mfma_i32_16x16x32_i8 v[196:199], a[84:85], v[148:149], v[196:199]// 000000022394: D3D700C4 0F132954
	v_mfma_i32_16x16x32_i8 v[196:199], a[86:87], v[150:151], v[196:199]// 00000002239C: D3D700C4 0F132D56
	v_mfma_i32_16x16x32_i8 v[196:199], a[88:89], v[152:153], v[196:199]// 0000000223A4: D3D700C4 0F133158
	v_mfma_i32_16x16x32_i8 v[196:199], a[90:91], v[154:155], v[196:199]// 0000000223AC: D3D700C4 0F13355A
	v_mfma_i32_16x16x32_i8 v[196:199], a[92:93], v[156:157], v[196:199]// 0000000223B4: D3D700C4 0F13395C
	v_mfma_i32_16x16x32_i8 v[196:199], a[94:95], v[158:159], v[196:199]// 0000000223BC: D3D700C4 0F133D5E
	v_mfma_i32_16x16x32_i8 v[200:203], a[64:65], v[160:161], 0 // 0000000223C4: D3D700C8 0A034140
	v_mfma_i32_16x16x32_i8 v[200:203], a[66:67], v[162:163], v[200:203]// 0000000223CC: D3D700C8 0F234542
	v_mfma_i32_16x16x32_i8 v[200:203], a[68:69], v[164:165], v[200:203]// 0000000223D4: D3D700C8 0F234944
	v_mfma_i32_16x16x32_i8 v[200:203], a[70:71], v[166:167], v[200:203]// 0000000223DC: D3D700C8 0F234D46
	v_mfma_i32_16x16x32_i8 v[200:203], a[72:73], v[168:169], v[200:203]// 0000000223E4: D3D700C8 0F235148
	v_mfma_i32_16x16x32_i8 v[200:203], a[74:75], v[170:171], v[200:203]// 0000000223EC: D3D700C8 0F23554A
	v_mfma_i32_16x16x32_i8 v[200:203], a[76:77], v[172:173], v[200:203]// 0000000223F4: D3D700C8 0F23594C
	v_mfma_i32_16x16x32_i8 v[200:203], a[78:79], v[174:175], v[200:203]// 0000000223FC: D3D700C8 0F235D4E
	v_mfma_i32_16x16x32_i8 v[204:207], a[80:81], v[160:161], 0 // 000000022404: D3D700CC 0A034150
	v_mfma_i32_16x16x32_i8 v[204:207], a[82:83], v[162:163], v[204:207]// 00000002240C: D3D700CC 0F334552
	v_mfma_i32_16x16x32_i8 v[204:207], a[84:85], v[164:165], v[204:207]// 000000022414: D3D700CC 0F334954
	v_mfma_i32_16x16x32_i8 v[204:207], a[86:87], v[166:167], v[204:207]// 00000002241C: D3D700CC 0F334D56
	v_mfma_i32_16x16x32_i8 v[204:207], a[88:89], v[168:169], v[204:207]// 000000022424: D3D700CC 0F335158
	v_mfma_i32_16x16x32_i8 v[204:207], a[90:91], v[170:171], v[204:207]// 00000002242C: D3D700CC 0F33555A
	v_mfma_i32_16x16x32_i8 v[204:207], a[92:93], v[172:173], v[204:207]// 000000022434: D3D700CC 0F33595C
	v_mfma_i32_16x16x32_i8 v[204:207], a[94:95], v[174:175], v[204:207]// 00000002243C: D3D700CC 0F335D5E
	v_add_u32_e32 v1, s56, v1                                  // 000000022444: 68020238
	s_addk_i32 s70, 0x100                                      // 000000022448: B7460100
	s_cmp_lt_i32 s70, s71                                      // 00000002244C: BF044746
	s_cbranch_scc0 label_77A4                                  // 000000022450: BF84F70F
	s_waitcnt vmcnt(8) lgkmcnt(0)                              // 000000022454: BF8C0078
	v_mul_u32_u24_dpp v64, v16, v54 row_newbcast:0 row_mask:0xf bank_mask:0xf// 000000022458: 10806CFA FF015010
	v_mul_u32_u24_dpp v65, v16, v54 row_newbcast:4 row_mask:0xf bank_mask:0xf// 000000022460: 10826CFA FF015410
	v_mul_u32_u24_dpp v66, v16, v54 row_newbcast:8 row_mask:0xf bank_mask:0xf// 000000022468: 10846CFA FF015810
	v_mul_u32_u24_dpp v67, v16, v54 row_newbcast:12 row_mask:0xf bank_mask:0xf// 000000022470: 10866CFA FF015C10
	v_add_u32_e32 v22, v64, v5                                 // 000000022478: 682C0B40
	v_add_u32_e32 v23, v65, v5                                 // 00000002247C: 682E0B41
	v_add_u32_e32 v24, v66, v5                                 // 000000022480: 68300B42
	v_add_u32_e32 v25, v67, v5                                 // 000000022484: 68320B43
	v_mul_u32_u24_dpp v64, v16, v63 quad_perm:[0,0,0,0] row_mask:0xf bank_mask:0xf// 000000022488: 10807EFA FF000010
	v_add_u32_e32 v2, v64, v59                                 // 000000022490: 68047740
	v_mul_u32_u24_dpp v64, v16, v63 quad_perm:[0,0,0,0] row_mask:0xf bank_mask:0xf// 000000022494: 10807EFA FF000010
	v_add_u32_e32 v55, v64, v60                                // 00000002249C: 686E7940
	v_mfma_i32_16x16x32_i8 v[112:115], a[32:33], v[80:81], 0   // 0000000224A0: D3D70070 0A02A120
	buffer_load_dwordx4 a[0:3], v22, s[16:19], 0 offen         // 0000000224A8: E05C1000 80840016
	v_mfma_i32_16x16x32_i8 v[112:115], a[34:35], v[82:83], v[112:115]// 0000000224B0: D3D70070 0DC2A522
	v_mfma_i32_16x16x32_i8 v[112:115], a[36:37], v[84:85], v[112:115]// 0000000224B8: D3D70070 0DC2A924
	buffer_load_dword v17, v1, s[24:27], 0 offen               // 0000000224C0: E0501000 80061101
	v_mfma_i32_16x16x32_i8 v[112:115], a[38:39], v[86:87], v[112:115]// 0000000224C8: D3D70070 0DC2AD26
	v_mfma_i32_16x16x32_i8 v[116:119], a[40:41], v[80:81], 0   // 0000000224D0: D3D70074 0A02A128
	buffer_load_dwordx4 a[4:7], v22, s[16:19], 0 offen offset:1024// 0000000224D8: E05C1400 80840416
	v_mfma_i32_16x16x32_i8 v[116:119], a[42:43], v[82:83], v[116:119]// 0000000224E0: D3D70074 0DD2A52A
	v_mfma_i32_16x16x32_i8 v[116:119], a[44:45], v[84:85], v[116:119]// 0000000224E8: D3D70074 0DD2A92C
	v_mfma_i32_16x16x32_i8 v[116:119], a[46:47], v[86:87], v[116:119]// 0000000224F0: D3D70074 0DD2AD2E
	v_mfma_i32_16x16x32_i8 v[120:123], a[48:49], v[80:81], 0   // 0000000224F8: D3D70078 0A02A130
	buffer_load_dwordx4 a[8:11], v23, s[16:19], 0 offen        // 000000022500: E05C1000 80840817
	v_mfma_i32_16x16x32_i8 v[120:123], a[50:51], v[82:83], v[120:123]// 000000022508: D3D70078 0DE2A532
	v_mfma_i32_16x16x32_i8 v[120:123], a[52:53], v[84:85], v[120:123]// 000000022510: D3D70078 0DE2A934
	v_mfma_i32_16x16x32_i8 v[120:123], a[54:55], v[86:87], v[120:123]// 000000022518: D3D70078 0DE2AD36
	v_mfma_i32_16x16x32_i8 v[124:127], a[56:57], v[80:81], 0   // 000000022520: D3D7007C 0A02A138
	buffer_load_dwordx4 a[12:15], v23, s[16:19], 0 offen offset:1024// 000000022528: E05C1400 80840C17
	v_mfma_i32_16x16x32_i8 v[124:127], a[58:59], v[82:83], v[124:127]// 000000022530: D3D7007C 0DF2A53A
	v_mfma_i32_16x16x32_i8 v[124:127], a[60:61], v[84:85], v[124:127]// 000000022538: D3D7007C 0DF2A93C
	v_mfma_i32_16x16x32_i8 v[124:127], a[62:63], v[86:87], v[124:127]// 000000022540: D3D7007C 0DF2AD3E
	v_mfma_i32_16x16x32_i8 v[128:131], a[32:33], v[88:89], 0   // 000000022548: D3D70080 0A02B120
	v_mfma_i32_16x16x32_i8 v[128:131], a[34:35], v[90:91], v[128:131]// 000000022550: D3D70080 0E02B522
	v_mfma_i32_16x16x32_i8 v[128:131], a[36:37], v[92:93], v[128:131]// 000000022558: D3D70080 0E02B924
	v_mfma_i32_16x16x32_i8 v[128:131], a[38:39], v[94:95], v[128:131]// 000000022560: D3D70080 0E02BD26
	v_mfma_i32_16x16x32_i8 v[132:135], a[40:41], v[88:89], 0   // 000000022568: D3D70084 0A02B128
	v_mfma_i32_16x16x32_i8 v[132:135], a[42:43], v[90:91], v[132:135]// 000000022570: D3D70084 0E12B52A
	v_mfma_i32_16x16x32_i8 v[132:135], a[44:45], v[92:93], v[132:135]// 000000022578: D3D70084 0E12B92C
	v_mfma_i32_16x16x32_i8 v[132:135], a[46:47], v[94:95], v[132:135]// 000000022580: D3D70084 0E12BD2E
	v_mfma_i32_16x16x32_i8 v[136:139], a[48:49], v[88:89], 0   // 000000022588: D3D70088 0A02B130
	v_mfma_i32_16x16x32_i8 v[136:139], a[50:51], v[90:91], v[136:139]// 000000022590: D3D70088 0E22B532
	v_mfma_i32_16x16x32_i8 v[136:139], a[52:53], v[92:93], v[136:139]// 000000022598: D3D70088 0E22B934
	v_mfma_i32_16x16x32_i8 v[136:139], a[54:55], v[94:95], v[136:139]// 0000000225A0: D3D70088 0E22BD36
	v_mfma_i32_16x16x32_i8 v[140:143], a[56:57], v[88:89], 0   // 0000000225A8: D3D7008C 0A02B138
	v_mfma_i32_16x16x32_i8 v[140:143], a[58:59], v[90:91], v[140:143]// 0000000225B0: D3D7008C 0E32B53A
	v_mfma_i32_16x16x32_i8 v[140:143], a[60:61], v[92:93], v[140:143]// 0000000225B8: D3D7008C 0E32B93C
	v_mfma_i32_16x16x32_i8 v[140:143], a[62:63], v[94:95], v[140:143]// 0000000225C0: D3D7008C 0E32BD3E
	v_mfma_i32_16x16x32_i8 v[144:147], a[32:33], v[96:97], 0   // 0000000225C8: D3D70090 0A02C120
	v_mfma_i32_16x16x32_i8 v[144:147], a[34:35], v[98:99], v[144:147]// 0000000225D0: D3D70090 0E42C522
	v_mfma_i32_16x16x32_i8 v[144:147], a[36:37], v[100:101], v[144:147]// 0000000225D8: D3D70090 0E42C924
	v_mfma_i32_16x16x32_i8 v[144:147], a[38:39], v[102:103], v[144:147]// 0000000225E0: D3D70090 0E42CD26
	v_mfma_i32_16x16x32_i8 v[148:151], a[40:41], v[96:97], 0   // 0000000225E8: D3D70094 0A02C128
	v_mfma_i32_16x16x32_i8 v[148:151], a[42:43], v[98:99], v[148:151]// 0000000225F0: D3D70094 0E52C52A
	v_mfma_i32_16x16x32_i8 v[148:151], a[44:45], v[100:101], v[148:151]// 0000000225F8: D3D70094 0E52C92C
	v_mfma_i32_16x16x32_i8 v[148:151], a[46:47], v[102:103], v[148:151]// 000000022600: D3D70094 0E52CD2E
	v_mfma_i32_16x16x32_i8 v[152:155], a[48:49], v[96:97], 0   // 000000022608: D3D70098 0A02C130
	v_mfma_i32_16x16x32_i8 v[152:155], a[50:51], v[98:99], v[152:155]// 000000022610: D3D70098 0E62C532
	v_mfma_i32_16x16x32_i8 v[152:155], a[52:53], v[100:101], v[152:155]// 000000022618: D3D70098 0E62C934
	v_mfma_i32_16x16x32_i8 v[152:155], a[54:55], v[102:103], v[152:155]// 000000022620: D3D70098 0E62CD36
	v_mfma_i32_16x16x32_i8 v[156:159], a[56:57], v[96:97], 0   // 000000022628: D3D7009C 0A02C138
	v_mfma_i32_16x16x32_i8 v[156:159], a[58:59], v[98:99], v[156:159]// 000000022630: D3D7009C 0E72C53A
	v_mfma_i32_16x16x32_i8 v[156:159], a[60:61], v[100:101], v[156:159]// 000000022638: D3D7009C 0E72C93C
	v_mfma_i32_16x16x32_i8 v[156:159], a[62:63], v[102:103], v[156:159]// 000000022640: D3D7009C 0E72CD3E
	v_mfma_i32_16x16x32_i8 v[160:163], a[32:33], v[104:105], 0 // 000000022648: D3D700A0 0A02D120
	v_mfma_i32_16x16x32_i8 v[160:163], a[34:35], v[106:107], v[160:163]// 000000022650: D3D700A0 0E82D522
	v_mfma_i32_16x16x32_i8 v[160:163], a[36:37], v[108:109], v[160:163]// 000000022658: D3D700A0 0E82D924
	v_mfma_i32_16x16x32_i8 v[160:163], a[38:39], v[110:111], v[160:163]// 000000022660: D3D700A0 0E82DD26
	v_mfma_i32_16x16x32_i8 v[164:167], a[40:41], v[104:105], 0 // 000000022668: D3D700A4 0A02D128
	v_mfma_i32_16x16x32_i8 v[164:167], a[42:43], v[106:107], v[164:167]// 000000022670: D3D700A4 0E92D52A
	v_mfma_i32_16x16x32_i8 v[164:167], a[44:45], v[108:109], v[164:167]// 000000022678: D3D700A4 0E92D92C
	v_mfma_i32_16x16x32_i8 v[164:167], a[46:47], v[110:111], v[164:167]// 000000022680: D3D700A4 0E92DD2E
	v_mfma_i32_16x16x32_i8 v[168:171], a[48:49], v[104:105], 0 // 000000022688: D3D700A8 0A02D130
	v_mfma_i32_16x16x32_i8 v[168:171], a[50:51], v[106:107], v[168:171]// 000000022690: D3D700A8 0EA2D532
	v_mfma_i32_16x16x32_i8 v[168:171], a[52:53], v[108:109], v[168:171]// 000000022698: D3D700A8 0EA2D934
	v_mfma_i32_16x16x32_i8 v[168:171], a[54:55], v[110:111], v[168:171]// 0000000226A0: D3D700A8 0EA2DD36
	v_mfma_i32_16x16x32_i8 v[172:175], a[56:57], v[104:105], 0 // 0000000226A8: D3D700AC 0A02D138
	v_mfma_i32_16x16x32_i8 v[172:175], a[58:59], v[106:107], v[172:175]// 0000000226B0: D3D700AC 0EB2D53A
	v_mfma_i32_16x16x32_i8 v[172:175], a[60:61], v[108:109], v[172:175]// 0000000226B8: D3D700AC 0EB2D93C
	v_mfma_i32_16x16x32_i8 v[172:175], a[62:63], v[110:111], v[172:175]// 0000000226C0: D3D700AC 0EB2DD3E
	buffer_load_dword v42, v2, s[32:35], 0 offen               // 0000000226C8: E0501000 80082A02
	v_mov_b32_dpp v64, v43 row_shr:4 row_mask:0xf bank_mask:0xf// 0000000226D0: 7E8002FA FF01142B
	v_mov_b32_dpp v65, v43 row_shl:4 row_mask:0xf bank_mask:0xf// 0000000226D8: 7E8202FA FF01042B
	v_cndmask_b32_e64 v248, v43, v64, s[44:45]                 // 0000000226E0: D10000F8 00B2812B
	v_cndmask_b32_e64 v249, v65, v43, s[44:45]                 // 0000000226E8: D10000F9 00B25741
	v_mov_b32_dpp v64, v248 row_shr:8 row_mask:0xf bank_mask:0xf// 0000000226F0: 7E8002FA FF0118F8
	v_mov_b32_dpp v65, v248 row_shl:8 row_mask:0xf bank_mask:0xf// 0000000226F8: 7E8202FA FF0108F8
	v_mov_b32_dpp v66, v249 row_shr:8 row_mask:0xf bank_mask:0xf// 000000022700: 7E8402FA FF0118F9
	v_mov_b32_dpp v67, v249 row_shl:8 row_mask:0xf bank_mask:0xf// 000000022708: 7E8602FA FF0108F9
	v_mov_b32_e32 v68, v248                                    // 000000022710: 7E8803F8
	v_mov_b32_e32 v69, v249                                    // 000000022714: 7E8A03F9
	v_cndmask_b32_e64 v248, v68, v64, s[42:43]                 // 000000022718: D10000F8 00AA8144
	v_cndmask_b32_e64 v250, v68, v65, s[78:79]                 // 000000022720: D10000FA 013A8344
	v_cndmask_b32_e64 v249, v69, v66, s[42:43]                 // 000000022728: D10000F9 00AA8545
	v_cndmask_b32_e64 v251, v69, v67, s[78:79]                 // 000000022730: D10000FB 013A8745
	v_mov_b32_dpp v64, v58 row_shr:4 row_mask:0xf bank_mask:0xf// 000000022738: 7E8002FA FF01143A
	v_mov_b32_dpp v65, v58 row_shl:4 row_mask:0xf bank_mask:0xf// 000000022740: 7E8202FA FF01043A
	v_cndmask_b32_e64 v252, v58, v64, s[44:45]                 // 000000022748: D10000FC 00B2813A
	v_cndmask_b32_e64 v253, v65, v58, s[44:45]                 // 000000022750: D10000FD 00B27541
	v_mov_b32_dpp v64, v252 row_shr:8 row_mask:0xf bank_mask:0xf// 000000022758: 7E8002FA FF0118FC
	v_mov_b32_dpp v65, v252 row_shl:8 row_mask:0xf bank_mask:0xf// 000000022760: 7E8202FA FF0108FC
	v_mov_b32_dpp v66, v253 row_shr:8 row_mask:0xf bank_mask:0xf// 000000022768: 7E8402FA FF0118FD
	v_mov_b32_dpp v67, v253 row_shl:8 row_mask:0xf bank_mask:0xf// 000000022770: 7E8602FA FF0108FD
	v_mov_b32_e32 v68, v252                                    // 000000022778: 7E8803FC
	v_mov_b32_e32 v69, v253                                    // 00000002277C: 7E8A03FD
	v_cndmask_b32_e64 v252, v68, v64, s[42:43]                 // 000000022780: D10000FC 00AA8144
	v_cndmask_b32_e64 v254, v68, v65, s[78:79]                 // 000000022788: D10000FE 013A8344
	v_cndmask_b32_e64 v253, v69, v66, s[42:43]                 // 000000022790: D10000FD 00AA8545
	v_cndmask_b32_e64 v255, v69, v67, s[78:79]                 // 000000022798: D10000FF 013A8745
	buffer_load_dword v57, v55, s[36:39], 0 offen              // 0000000227A0: E0501000 80093937
	v_cvt_f32_i32_e32 v112, v112                               // 0000000227A8: 7EE00B70
	v_cvt_f32_i32_e32 v113, v113                               // 0000000227AC: 7EE20B71
	v_cvt_f32_i32_e32 v114, v114                               // 0000000227B0: 7EE40B72
	v_cvt_f32_i32_e32 v115, v115                               // 0000000227B4: 7EE60B73
	v_cvt_f32_i32_e32 v116, v116                               // 0000000227B8: 7EE80B74
	v_cvt_f32_i32_e32 v117, v117                               // 0000000227BC: 7EEA0B75
	v_cvt_f32_i32_e32 v118, v118                               // 0000000227C0: 7EEC0B76
	v_cvt_f32_i32_e32 v119, v119                               // 0000000227C4: 7EEE0B77
	v_cvt_f32_i32_e32 v120, v120                               // 0000000227C8: 7EF00B78
	v_cvt_f32_i32_e32 v121, v121                               // 0000000227CC: 7EF20B79
	v_cvt_f32_i32_e32 v122, v122                               // 0000000227D0: 7EF40B7A
	v_cvt_f32_i32_e32 v123, v123                               // 0000000227D4: 7EF60B7B
	v_cvt_f32_i32_e32 v124, v124                               // 0000000227D8: 7EF80B7C
	v_cvt_f32_i32_e32 v125, v125                               // 0000000227DC: 7EFA0B7D
	v_cvt_f32_i32_e32 v126, v126                               // 0000000227E0: 7EFC0B7E
	v_cvt_f32_i32_e32 v127, v127                               // 0000000227E4: 7EFE0B7F
	v_mul_f32_e32 v112, v18, v112                              // 0000000227E8: 0AE0E112
	v_mul_f32_e32 v113, v18, v113                              // 0000000227EC: 0AE2E312
	v_mul_f32_e32 v114, v18, v114                              // 0000000227F0: 0AE4E512
	v_mul_f32_e32 v115, v18, v115                              // 0000000227F4: 0AE6E712
	v_mul_f32_e32 v116, v18, v116                              // 0000000227F8: 0AE8E912
	v_mul_f32_e32 v117, v18, v117                              // 0000000227FC: 0AEAEB12
	v_mul_f32_e32 v118, v18, v118                              // 000000022800: 0AECED12
	v_mul_f32_e32 v119, v18, v119                              // 000000022804: 0AEEEF12
	v_mul_f32_e32 v120, v18, v120                              // 000000022808: 0AF0F112
	v_mul_f32_e32 v121, v18, v121                              // 00000002280C: 0AF2F312
	v_mul_f32_e32 v122, v18, v122                              // 000000022810: 0AF4F512
	v_mul_f32_e32 v123, v18, v123                              // 000000022814: 0AF6F712
	v_mul_f32_e32 v124, v18, v124                              // 000000022818: 0AF8F912
	v_mul_f32_e32 v125, v18, v125                              // 00000002281C: 0AFAFB12
	v_mul_f32_e32 v126, v18, v126                              // 000000022820: 0AFCFD12
	v_mul_f32_e32 v127, v18, v127                              // 000000022824: 0AFEFF12
	buffer_load_dwordx4 a[16:19], v24, s[16:19], 0 offen       // 000000022828: E05C1000 80841018
	v_mul_f32_dpp v112, v248, v112 quad_perm:[0,0,0,0] row_mask:0xf bank_mask:0xf// 000000022830: 0AE0E0FA FF0000F8
	v_mul_f32_dpp v113, v248, v113 quad_perm:[1,1,1,1] row_mask:0xf bank_mask:0xf// 000000022838: 0AE2E2FA FF0055F8
	v_mul_f32_dpp v114, v248, v114 quad_perm:[2,2,2,2] row_mask:0xf bank_mask:0xf// 000000022840: 0AE4E4FA FF00AAF8
	v_mul_f32_dpp v115, v248, v115 quad_perm:[3,3,3,3] row_mask:0xf bank_mask:0xf// 000000022848: 0AE6E6FA FF00FFF8
	v_mul_f32_dpp v116, v249, v116 quad_perm:[0,0,0,0] row_mask:0xf bank_mask:0xf// 000000022850: 0AE8E8FA FF0000F9
	v_mul_f32_dpp v117, v249, v117 quad_perm:[1,1,1,1] row_mask:0xf bank_mask:0xf// 000000022858: 0AEAEAFA FF0055F9
	v_mul_f32_dpp v118, v249, v118 quad_perm:[2,2,2,2] row_mask:0xf bank_mask:0xf// 000000022860: 0AECECFA FF00AAF9
	v_mul_f32_dpp v119, v249, v119 quad_perm:[3,3,3,3] row_mask:0xf bank_mask:0xf// 000000022868: 0AEEEEFA FF00FFF9
	v_mul_f32_dpp v120, v250, v120 quad_perm:[0,0,0,0] row_mask:0xf bank_mask:0xf// 000000022870: 0AF0F0FA FF0000FA
	v_mul_f32_dpp v121, v250, v121 quad_perm:[1,1,1,1] row_mask:0xf bank_mask:0xf// 000000022878: 0AF2F2FA FF0055FA
	v_mul_f32_dpp v122, v250, v122 quad_perm:[2,2,2,2] row_mask:0xf bank_mask:0xf// 000000022880: 0AF4F4FA FF00AAFA
	v_mul_f32_dpp v123, v250, v123 quad_perm:[3,3,3,3] row_mask:0xf bank_mask:0xf// 000000022888: 0AF6F6FA FF00FFFA
	v_mul_f32_dpp v124, v251, v124 quad_perm:[0,0,0,0] row_mask:0xf bank_mask:0xf// 000000022890: 0AF8F8FA FF0000FB
	v_mul_f32_dpp v125, v251, v125 quad_perm:[1,1,1,1] row_mask:0xf bank_mask:0xf// 000000022898: 0AFAFAFA FF0055FB
	v_mul_f32_dpp v126, v251, v126 quad_perm:[2,2,2,2] row_mask:0xf bank_mask:0xf// 0000000228A0: 0AFCFCFA FF00AAFB
	v_mul_f32_dpp v127, v251, v127 quad_perm:[3,3,3,3] row_mask:0xf bank_mask:0xf// 0000000228A8: 0AFEFEFA FF00FFFB
	buffer_load_dwordx4 a[20:23], v24, s[16:19], 0 offen offset:1024// 0000000228B0: E05C1400 80841418
	v_mov_b32_e32 v48, v112                                    // 0000000228B8: 7E600370
	v_max3_f32 v48, v112, v113, v48                            // 0000000228BC: D1D30030 04C2E370
	v_max3_f32 v48, v114, v115, v48                            // 0000000228C4: D1D30030 04C2E772
	v_max3_f32 v48, v116, v117, v48                            // 0000000228CC: D1D30030 04C2EB74
	v_max3_f32 v48, v118, v119, v48                            // 0000000228D4: D1D30030 04C2EF76
	v_max3_f32 v48, v120, v121, v48                            // 0000000228DC: D1D30030 04C2F378
	v_max3_f32 v48, v122, v123, v48                            // 0000000228E4: D1D30030 04C2F77A
	v_max3_f32 v48, v124, v125, v48                            // 0000000228EC: D1D30030 04C2FB7C
	v_max3_f32 v48, v126, v127, v48                            // 0000000228F4: D1D30030 04C2FF7E
	ds_write_b32 v8, v48 offset:16896                          // 0000000228FC: D81A4200 00003008
	buffer_load_dwordx4 a[24:27], v25, s[16:19], 0 offen       // 000000022904: E05C1000 80841819
	v_mul_u32_u24_dpp v64, v16, v54 row_newbcast:1 row_mask:0xf bank_mask:0xf// 00000002290C: 10806CFA FF015110
	v_mul_u32_u24_dpp v65, v16, v54 row_newbcast:5 row_mask:0xf bank_mask:0xf// 000000022914: 10826CFA FF015510
	v_mul_u32_u24_dpp v66, v16, v54 row_newbcast:9 row_mask:0xf bank_mask:0xf// 00000002291C: 10846CFA FF015910
	v_mul_u32_u24_dpp v67, v16, v54 row_newbcast:13 row_mask:0xf bank_mask:0xf// 000000022924: 10866CFA FF015D10
	v_add_u32_e32 v30, v64, v6                                 // 00000002292C: 683C0D40
	v_add_u32_e32 v31, v65, v6                                 // 000000022930: 683E0D41
	v_add_u32_e32 v32, v66, v6                                 // 000000022934: 68400D42
	v_add_u32_e32 v33, v67, v6                                 // 000000022938: 68420D43
	v_mul_f32_e32 v208, v49, v208                              // 00000002293C: 0BA1A131
	v_mul_f32_e32 v209, v49, v209                              // 000000022940: 0BA3A331
	v_mul_f32_e32 v210, v49, v210                              // 000000022944: 0BA5A531
	v_mul_f32_e32 v211, v49, v211                              // 000000022948: 0BA7A731
	v_mul_f32_e32 v212, v49, v212                              // 00000002294C: 0BA9A931
	v_mul_f32_e32 v213, v49, v213                              // 000000022950: 0BABAB31
	v_mul_f32_e32 v214, v49, v214                              // 000000022954: 0BADAD31
	v_mul_f32_e32 v215, v49, v215                              // 000000022958: 0BAFAF31
	s_waitcnt lgkmcnt(0)                                       // 00000002295C: BF8CC07F
	s_barrier                                                  // 000000022960: BF8A0000
	ds_read_b32 v64, v7 offset:16896                           // 000000022964: D86C4200 40000007
	ds_read_b32 v65, v7 offset:16960                           // 00000002296C: D86C4240 41000007
	ds_read_b32 v66, v7 offset:17024                           // 000000022974: D86C4280 42000007
	ds_read_b32 v67, v7 offset:17088                           // 00000002297C: D86C42C0 43000007
	ds_read_b32 v68, v7 offset:17152                           // 000000022984: D86C4300 44000007
	ds_read_b32 v69, v7 offset:17216                           // 00000002298C: D86C4340 45000007
	ds_read_b32 v70, v7 offset:17280                           // 000000022994: D86C4380 46000007
	ds_read_b32 v71, v7 offset:17344                           // 00000002299C: D86C43C0 47000007
	ds_read_b32 v72, v7 offset:17408                           // 0000000229A4: D86C4400 48000007
	ds_read_b32 v73, v7 offset:17472                           // 0000000229AC: D86C4440 49000007
	ds_read_b32 v74, v7 offset:17536                           // 0000000229B4: D86C4480 4A000007
	ds_read_b32 v75, v7 offset:17600                           // 0000000229BC: D86C44C0 4B000007
	ds_read_b32 v76, v7 offset:17664                           // 0000000229C4: D86C4500 4C000007
	ds_read_b32 v77, v7 offset:17728                           // 0000000229CC: D86C4540 4D000007
	ds_read_b32 v78, v7 offset:17792                           // 0000000229D4: D86C4580 4E000007
	ds_read_b32 v79, v7 offset:17856                           // 0000000229DC: D86C45C0 4F000007
	buffer_load_dwordx4 a[28:31], v25, s[16:19], 0 offen offset:1024// 0000000229E4: E05C1400 80841C19
	v_cvt_f32_i32_e32 v176, v176                               // 0000000229EC: 7F600BB0
	v_cvt_f32_i32_e32 v177, v177                               // 0000000229F0: 7F620BB1
	v_cvt_f32_i32_e32 v178, v178                               // 0000000229F4: 7F640BB2
	v_cvt_f32_i32_e32 v179, v179                               // 0000000229F8: 7F660BB3
	v_cvt_f32_i32_e32 v180, v180                               // 0000000229FC: 7F680BB4
	v_cvt_f32_i32_e32 v181, v181                               // 000000022A00: 7F6A0BB5
	v_cvt_f32_i32_e32 v182, v182                               // 000000022A04: 7F6C0BB6
	v_cvt_f32_i32_e32 v183, v183                               // 000000022A08: 7F6E0BB7
	v_mul_f32_e32 v176, v44, v176                              // 000000022A0C: 0B61612C
	v_mul_f32_e32 v177, v44, v177                              // 000000022A10: 0B63632C
	v_mul_f32_e32 v178, v44, v178                              // 000000022A14: 0B65652C
	v_mul_f32_e32 v179, v44, v179                              // 000000022A18: 0B67672C
	v_mul_f32_e32 v180, v44, v180                              // 000000022A1C: 0B69692C
	v_mul_f32_e32 v181, v44, v181                              // 000000022A20: 0B6B6B2C
	v_mul_f32_e32 v182, v44, v182                              // 000000022A24: 0B6D6D2C
	v_mul_f32_e32 v183, v44, v183                              // 000000022A28: 0B6F6F2C
	s_waitcnt lgkmcnt(0)                                       // 000000022A2C: BF8CC07F
	v_max3_f32 v48, v64, v65, v48                              // 000000022A30: D1D30030 04C28340
	v_max3_f32 v48, v66, v67, v48                              // 000000022A38: D1D30030 04C28742
	v_max3_f32 v48, v68, v69, v48                              // 000000022A40: D1D30030 04C28B44
	v_max3_f32 v48, v70, v71, v48                              // 000000022A48: D1D30030 04C28F46
	v_max3_f32 v48, v72, v73, v48                              // 000000022A50: D1D30030 04C29348
	v_max3_f32 v48, v74, v75, v48                              // 000000022A58: D1D30030 04C2974A
	v_max3_f32 v48, v76, v77, v48                              // 000000022A60: D1D30030 04C29B4C
	v_max3_f32 v48, v78, v79, v48                              // 000000022A68: D1D30030 04C29F4E
	buffer_load_dwordx4 a[64:67], v30, s[20:23], 0 offen       // 000000022A70: E05C1000 8085401E
	v_mov_b32_e32 v64, 0xff800000                              // 000000022A78: 7E8002FF FF800000
	v_cmp_eq_u32_e64 s[40:41], v64, v11                        // 000000022A80: D0CA0028 00021740
	s_nop 1                                                    // 000000022A88: BF800001
	v_max_f32_e32 v15, v48, v11                                // 000000022A8C: 161E1730
	v_mul_f32_e32 v53, s64, v15                                // 000000022A90: 0A6A1E40
	v_fma_f32 v112, v112, s64, -v53                            // 000000022A94: D1CB0070 84D48170
	v_fma_f32 v113, v113, s64, -v53                            // 000000022A9C: D1CB0071 84D48171
	v_fma_f32 v114, v114, s64, -v53                            // 000000022AA4: D1CB0072 84D48172
	v_fma_f32 v115, v115, s64, -v53                            // 000000022AAC: D1CB0073 84D48173
	v_fma_f32 v116, v116, s64, -v53                            // 000000022AB4: D1CB0074 84D48174
	v_fma_f32 v117, v117, s64, -v53                            // 000000022ABC: D1CB0075 84D48175
	v_fma_f32 v118, v118, s64, -v53                            // 000000022AC4: D1CB0076 84D48176
	v_fma_f32 v119, v119, s64, -v53                            // 000000022ACC: D1CB0077 84D48177
	v_fma_f32 v120, v120, s64, -v53                            // 000000022AD4: D1CB0078 84D48178
	v_fma_f32 v121, v121, s64, -v53                            // 000000022ADC: D1CB0079 84D48179
	v_fma_f32 v122, v122, s64, -v53                            // 000000022AE4: D1CB007A 84D4817A
	v_fma_f32 v123, v123, s64, -v53                            // 000000022AEC: D1CB007B 84D4817B
	v_fma_f32 v124, v124, s64, -v53                            // 000000022AF4: D1CB007C 84D4817C
	v_fma_f32 v125, v125, s64, -v53                            // 000000022AFC: D1CB007D 84D4817D
	v_fma_f32 v126, v126, s64, -v53                            // 000000022B04: D1CB007E 84D4817E
	v_fma_f32 v127, v127, s64, -v53                            // 000000022B0C: D1CB007F 84D4817F
	buffer_load_dwordx4 a[68:71], v31, s[20:23], 0 offen       // 000000022B14: E05C1000 8085441F
	v_exp_f32_e32 v112, v112                                   // 000000022B1C: 7EE04170
	v_exp_f32_e32 v113, v113                                   // 000000022B20: 7EE24171
	v_exp_f32_e32 v114, v114                                   // 000000022B24: 7EE44172
	v_exp_f32_e32 v115, v115                                   // 000000022B28: 7EE64173
	v_exp_f32_e32 v116, v116                                   // 000000022B2C: 7EE84174
	v_exp_f32_e32 v117, v117                                   // 000000022B30: 7EEA4175
	v_exp_f32_e32 v118, v118                                   // 000000022B34: 7EEC4176
	v_exp_f32_e32 v119, v119                                   // 000000022B38: 7EEE4177
	v_exp_f32_e32 v120, v120                                   // 000000022B3C: 7EF04178
	v_exp_f32_e32 v121, v121                                   // 000000022B40: 7EF24179
	v_exp_f32_e32 v122, v122                                   // 000000022B44: 7EF4417A
	v_exp_f32_e32 v123, v123                                   // 000000022B48: 7EF6417B
	v_exp_f32_e32 v124, v124                                   // 000000022B4C: 7EF8417C
	v_exp_f32_e32 v125, v125                                   // 000000022B50: 7EFA417D
	v_exp_f32_e32 v126, v126                                   // 000000022B54: 7EFC417E
	v_exp_f32_e32 v127, v127                                   // 000000022B58: 7EFE417F
	buffer_load_dwordx4 a[72:75], v32, s[20:23], 0 offen       // 000000022B5C: E05C1000 80854820
	v_mul_f32_dpp v240, v252, v112 quad_perm:[0,0,0,0] row_mask:0xf bank_mask:0xf// 000000022B64: 0BE0E0FA FF0000FC
	v_mul_f32_dpp v241, v252, v113 quad_perm:[1,1,1,1] row_mask:0xf bank_mask:0xf// 000000022B6C: 0BE2E2FA FF0055FC
	v_mul_f32_dpp v242, v252, v114 quad_perm:[2,2,2,2] row_mask:0xf bank_mask:0xf// 000000022B74: 0BE4E4FA FF00AAFC
	v_mul_f32_dpp v243, v252, v115 quad_perm:[3,3,3,3] row_mask:0xf bank_mask:0xf// 000000022B7C: 0BE6E6FA FF00FFFC
	v_mul_f32_dpp v244, v253, v116 quad_perm:[0,0,0,0] row_mask:0xf bank_mask:0xf// 000000022B84: 0BE8E8FA FF0000FD
	v_mul_f32_dpp v245, v253, v117 quad_perm:[1,1,1,1] row_mask:0xf bank_mask:0xf// 000000022B8C: 0BEAEAFA FF0055FD
	v_mul_f32_dpp v246, v253, v118 quad_perm:[2,2,2,2] row_mask:0xf bank_mask:0xf// 000000022B94: 0BECECFA FF00AAFD
	v_mul_f32_dpp v247, v253, v119 quad_perm:[3,3,3,3] row_mask:0xf bank_mask:0xf// 000000022B9C: 0BEEEEFA FF00FFFD
	v_mul_f32_dpp v248, v254, v120 quad_perm:[0,0,0,0] row_mask:0xf bank_mask:0xf// 000000022BA4: 0BF0F0FA FF0000FE
	v_mul_f32_dpp v249, v254, v121 quad_perm:[1,1,1,1] row_mask:0xf bank_mask:0xf// 000000022BAC: 0BF2F2FA FF0055FE
	v_mul_f32_dpp v250, v254, v122 quad_perm:[2,2,2,2] row_mask:0xf bank_mask:0xf// 000000022BB4: 0BF4F4FA FF00AAFE
	v_mul_f32_dpp v251, v254, v123 quad_perm:[3,3,3,3] row_mask:0xf bank_mask:0xf// 000000022BBC: 0BF6F6FA FF00FFFE
	v_mul_f32_dpp v252, v255, v124 quad_perm:[0,0,0,0] row_mask:0xf bank_mask:0xf// 000000022BC4: 0BF8F8FA FF0000FF
	v_mul_f32_dpp v253, v255, v125 quad_perm:[1,1,1,1] row_mask:0xf bank_mask:0xf// 000000022BCC: 0BFAFAFA FF0055FF
	v_mul_f32_dpp v254, v255, v126 quad_perm:[2,2,2,2] row_mask:0xf bank_mask:0xf// 000000022BD4: 0BFCFCFA FF00AAFF
	v_mul_f32_dpp v255, v255, v127 quad_perm:[3,3,3,3] row_mask:0xf bank_mask:0xf// 000000022BDC: 0BFEFEFA FF00FFFF
	v_mov_b32_e32 v48, 0x358637bd                              // 000000022BE4: 7E6002FF 358637BD
	v_max3_f32 v48, |v240|, |v241|, v48                        // 000000022BEC: D1D30330 04C3E3F0
	v_max3_f32 v48, |v242|, |v243|, v48                        // 000000022BF4: D1D30330 04C3E7F2
	v_max3_f32 v48, |v244|, |v245|, v48                        // 000000022BFC: D1D30330 04C3EBF4
	v_max3_f32 v48, |v246|, |v247|, v48                        // 000000022C04: D1D30330 04C3EFF6
	v_max3_f32 v48, |v248|, |v249|, v48                        // 000000022C0C: D1D30330 04C3F3F8
	v_max3_f32 v48, |v250|, |v251|, v48                        // 000000022C14: D1D30330 04C3F7FA
	v_max3_f32 v48, |v252|, |v253|, v48                        // 000000022C1C: D1D30330 04C3FBFC
	v_max3_f32 v48, |v254|, |v255|, v48                        // 000000022C24: D1D30330 04C3FFFE
	buffer_load_dwordx4 a[76:79], v33, s[20:23], 0 offen       // 000000022C2C: E05C1000 80854C21
	ds_write_b32 v8, v48 offset:20992                          // 000000022C34: D81A5200 00003008
	v_sub_f32_e32 v49, v11, v15                                // 000000022C3C: 04621F0B
	v_cndmask_b32_e64 v49, v49, 0, s[40:41]                    // 000000022C40: D1000031 00A10131
	v_mov_b32_e32 v11, v15                                     // 000000022C48: 7E16030F
	v_mul_f32_e32 v49, s64, v49                                // 000000022C4C: 0A626240
	v_exp_f32_e32 v49, v49                                     // 000000022C50: 7E624131
	s_waitcnt lgkmcnt(0)                                       // 000000022C54: BF8CC07F
	s_barrier                                                  // 000000022C58: BF8A0000
	ds_read_b32 v64, v7 offset:20992                           // 000000022C5C: D86C5200 40000007
	ds_read_b32 v65, v7 offset:21056                           // 000000022C64: D86C5240 41000007
	ds_read_b32 v66, v7 offset:21120                           // 000000022C6C: D86C5280 42000007
	ds_read_b32 v67, v7 offset:21184                           // 000000022C74: D86C52C0 43000007
	ds_read_b32 v68, v7 offset:21248                           // 000000022C7C: D86C5300 44000007
	ds_read_b32 v69, v7 offset:21312                           // 000000022C84: D86C5340 45000007
	ds_read_b32 v70, v7 offset:21376                           // 000000022C8C: D86C5380 46000007
	ds_read_b32 v71, v7 offset:21440                           // 000000022C94: D86C53C0 47000007
	ds_read_b32 v72, v7 offset:21504                           // 000000022C9C: D86C5400 48000007
	ds_read_b32 v73, v7 offset:21568                           // 000000022CA4: D86C5440 49000007
	ds_read_b32 v74, v7 offset:21632                           // 000000022CAC: D86C5480 4A000007
	ds_read_b32 v75, v7 offset:21696                           // 000000022CB4: D86C54C0 4B000007
	ds_read_b32 v76, v7 offset:21760                           // 000000022CBC: D86C5500 4C000007
	ds_read_b32 v77, v7 offset:21824                           // 000000022CC4: D86C5540 4D000007
	ds_read_b32 v78, v7 offset:21888                           // 000000022CCC: D86C5580 4E000007
	ds_read_b32 v79, v7 offset:21952                           // 000000022CD4: D86C55C0 4F000007
	v_mul_f32_e32 v38, v49, v38                                // 000000022CDC: 0A4C4D31
	v_mov_b32_e32 v15, v112                                    // 000000022CE0: 7E1E0370
	v_add_f32_e32 v15, v113, v15                               // 000000022CE4: 021E1F71
	v_add_f32_e32 v15, v114, v15                               // 000000022CE8: 021E1F72
	v_add_f32_e32 v15, v115, v15                               // 000000022CEC: 021E1F73
	v_add_f32_e32 v15, v116, v15                               // 000000022CF0: 021E1F74
	v_add_f32_e32 v15, v117, v15                               // 000000022CF4: 021E1F75
	v_add_f32_e32 v15, v118, v15                               // 000000022CF8: 021E1F76
	v_add_f32_e32 v15, v119, v15                               // 000000022CFC: 021E1F77
	v_add_f32_e32 v15, v120, v15                               // 000000022D00: 021E1F78
	v_add_f32_e32 v15, v121, v15                               // 000000022D04: 021E1F79
	v_add_f32_e32 v15, v122, v15                               // 000000022D08: 021E1F7A
	v_add_f32_e32 v15, v123, v15                               // 000000022D0C: 021E1F7B
	v_add_f32_e32 v15, v124, v15                               // 000000022D10: 021E1F7C
	v_add_f32_e32 v15, v125, v15                               // 000000022D14: 021E1F7D
	v_add_f32_e32 v15, v126, v15                               // 000000022D18: 021E1F7E
	v_add_f32_e32 v15, v127, v15                               // 000000022D1C: 021E1F7F
	v_add_f32_e32 v38, v15, v38                                // 000000022D20: 024C4D0F
	s_waitcnt lgkmcnt(0)                                       // 000000022D24: BF8CC07F
	v_max3_f32 v48, |v64|, |v65|, v48                          // 000000022D28: D1D30330 04C28340
	v_max3_f32 v48, |v66|, |v67|, v48                          // 000000022D30: D1D30330 04C28742
	v_max3_f32 v48, |v68|, |v69|, v48                          // 000000022D38: D1D30330 04C28B44
	v_max3_f32 v48, |v70|, |v71|, v48                          // 000000022D40: D1D30330 04C28F46
	v_max3_f32 v48, |v72|, |v73|, v48                          // 000000022D48: D1D30330 04C29348
	v_max3_f32 v48, |v74|, |v75|, v48                          // 000000022D50: D1D30330 04C2974A
	v_max3_f32 v48, |v76|, |v77|, v48                          // 000000022D58: D1D30330 04C29B4C
	v_max3_f32 v48, |v78|, |v79|, v48                          // 000000022D60: D1D30330 04C29F4E
	s_nop 2                                                    // 000000022D68: BF800002
	v_rcp_f32_e32 v48, v48                                     // 000000022D6C: 7E604530
	s_nop 1                                                    // 000000022D70: BF800001
	v_mul_f32_e32 v48, 0x42fe0000, v48                         // 000000022D74: 0A6060FF 42FE0000
	v_mul_f32_e32 v112, v48, v240                              // 000000022D7C: 0AE1E130
	v_mul_f32_e32 v113, v48, v241                              // 000000022D80: 0AE3E330
	v_mul_f32_e32 v114, v48, v242                              // 000000022D84: 0AE5E530
	v_mul_f32_e32 v115, v48, v243                              // 000000022D88: 0AE7E730
	v_mul_f32_e32 v116, v48, v244                              // 000000022D8C: 0AE9E930
	v_mul_f32_e32 v117, v48, v245                              // 000000022D90: 0AEBEB30
	v_mul_f32_e32 v118, v48, v246                              // 000000022D94: 0AEDED30
	v_mul_f32_e32 v119, v48, v247                              // 000000022D98: 0AEFEF30
	v_mul_f32_e32 v120, v48, v248                              // 000000022D9C: 0AF1F130
	v_mul_f32_e32 v121, v48, v249                              // 000000022DA0: 0AF3F330
	v_mul_f32_e32 v122, v48, v250                              // 000000022DA4: 0AF5F530
	v_mul_f32_e32 v123, v48, v251                              // 000000022DA8: 0AF7F730
	v_mul_f32_e32 v124, v48, v252                              // 000000022DAC: 0AF9F930
	v_mul_f32_e32 v125, v48, v253                              // 000000022DB0: 0AFBFB30
	v_mul_f32_e32 v126, v48, v254                              // 000000022DB4: 0AFDFD30
	v_mul_f32_e32 v127, v48, v255                              // 000000022DB8: 0AFFFF30
	v_cvt_i32_f32_e32 v112, v112                               // 000000022DBC: 7EE01170
	v_cvt_i32_f32_e32 v113, v113                               // 000000022DC0: 7EE21171
	v_cvt_i32_f32_e32 v114, v114                               // 000000022DC4: 7EE41172
	v_cvt_i32_f32_e32 v115, v115                               // 000000022DC8: 7EE61173
	v_cvt_i32_f32_e32 v116, v116                               // 000000022DCC: 7EE81174
	v_cvt_i32_f32_e32 v117, v117                               // 000000022DD0: 7EEA1175
	v_cvt_i32_f32_e32 v118, v118                               // 000000022DD4: 7EEC1176
	v_cvt_i32_f32_e32 v119, v119                               // 000000022DD8: 7EEE1177
	v_cvt_i32_f32_e32 v120, v120                               // 000000022DDC: 7EF01178
	v_cvt_i32_f32_e32 v121, v121                               // 000000022DE0: 7EF21179
	v_cvt_i32_f32_e32 v122, v122                               // 000000022DE4: 7EF4117A
	v_cvt_i32_f32_e32 v123, v123                               // 000000022DE8: 7EF6117B
	v_cvt_i32_f32_e32 v124, v124                               // 000000022DEC: 7EF8117C
	v_cvt_i32_f32_e32 v125, v125                               // 000000022DF0: 7EFA117D
	v_cvt_i32_f32_e32 v126, v126                               // 000000022DF4: 7EFC117E
	v_cvt_i32_f32_e32 v127, v127                               // 000000022DF8: 7EFE117F
	v_perm_b32 v112, v113, v112, s53                           // 000000022DFC: D1ED0070 00D6E171
	v_perm_b32 v112, v114, v112, s54                           // 000000022E04: D1ED0070 00DAE172
	v_perm_b32 v112, v115, v112, s55                           // 000000022E0C: D1ED0070 00DEE173
	v_perm_b32 v113, v117, v116, s53                           // 000000022E14: D1ED0071 00D6E975
	v_perm_b32 v113, v118, v113, s54                           // 000000022E1C: D1ED0071 00DAE376
	v_perm_b32 v113, v119, v113, s55                           // 000000022E24: D1ED0071 00DEE377
	v_perm_b32 v114, v121, v120, s53                           // 000000022E2C: D1ED0072 00D6F179
	v_perm_b32 v114, v122, v114, s54                           // 000000022E34: D1ED0072 00DAE57A
	v_perm_b32 v114, v123, v114, s55                           // 000000022E3C: D1ED0072 00DEE57B
	v_perm_b32 v115, v125, v124, s53                           // 000000022E44: D1ED0073 00D6F97D
	v_perm_b32 v115, v126, v115, s54                           // 000000022E4C: D1ED0073 00DAE77E
	v_perm_b32 v115, v127, v115, s55                           // 000000022E54: D1ED0073 00DEE77F
	ds_write_b32 v10, v112 offset:25088                        // 000000022E5C: D81A6200 0000700A
	ds_write_b32 v10, v113 offset:26112                        // 000000022E64: D81A6600 0000710A
	ds_write_b32 v10, v114 offset:27136                        // 000000022E6C: D81A6A00 0000720A
	ds_write_b32 v10, v115 offset:28160                        // 000000022E74: D81A6E00 0000730A
	v_add_f32_e32 v208, v208, v176                             // 000000022E7C: 03A161D0
	v_add_f32_e32 v209, v209, v177                             // 000000022E80: 03A363D1
	v_add_f32_e32 v210, v210, v178                             // 000000022E84: 03A565D2
	v_add_f32_e32 v211, v211, v179                             // 000000022E88: 03A767D3
	v_add_f32_e32 v212, v212, v180                             // 000000022E8C: 03A969D4
	v_add_f32_e32 v213, v213, v181                             // 000000022E90: 03AB6BD5
	v_add_f32_e32 v214, v214, v182                             // 000000022E94: 03AD6DD6
	v_add_f32_e32 v215, v215, v183                             // 000000022E98: 03AF6FD7
	v_rcp_f32_e32 v44, v48                                     // 000000022E9C: 7E584530
	s_waitcnt lgkmcnt(0)                                       // 000000022EA0: BF8CC07F
	s_barrier                                                  // 000000022EA4: BF8A0000
	ds_read_b64 v[112:113], v9 offset:25088                    // 000000022EA8: D8EC6200 70000009
	ds_read_b64 v[114:115], v9 offset:25216                    // 000000022EB0: D8EC6280 72000009
	ds_read_b64 v[116:117], v9 offset:26112                    // 000000022EB8: D8EC6600 74000009
	ds_read_b64 v[118:119], v9 offset:26240                    // 000000022EC0: D8EC6680 76000009
	ds_read_b64 v[120:121], v9 offset:27136                    // 000000022EC8: D8EC6A00 78000009
	ds_read_b64 v[122:123], v9 offset:27264                    // 000000022ED0: D8EC6A80 7A000009
	ds_read_b64 v[124:125], v9 offset:28160                    // 000000022ED8: D8EC6E00 7C000009
	ds_read_b64 v[126:127], v9 offset:28288                    // 000000022EE0: D8EC6E80 7E000009
	v_mov_b32_dpp v64, v43 row_shr:4 row_mask:0xf bank_mask:0xf// 000000022EE8: 7E8002FA FF01142B
	v_mov_b32_dpp v65, v43 row_shl:4 row_mask:0xf bank_mask:0xf// 000000022EF0: 7E8202FA FF01042B
	v_cndmask_b32_e64 v248, v43, v64, s[44:45]                 // 000000022EF8: D10000F8 00B2812B
	v_cndmask_b32_e64 v249, v65, v43, s[44:45]                 // 000000022F00: D10000F9 00B25741
	v_mov_b32_dpp v64, v248 row_shr:8 row_mask:0xf bank_mask:0xf// 000000022F08: 7E8002FA FF0118F8
	v_mov_b32_dpp v65, v248 row_shl:8 row_mask:0xf bank_mask:0xf// 000000022F10: 7E8202FA FF0108F8
	v_mov_b32_dpp v66, v249 row_shr:8 row_mask:0xf bank_mask:0xf// 000000022F18: 7E8402FA FF0118F9
	v_mov_b32_dpp v67, v249 row_shl:8 row_mask:0xf bank_mask:0xf// 000000022F20: 7E8602FA FF0108F9
	v_mov_b32_e32 v68, v248                                    // 000000022F28: 7E8803F8
	v_mov_b32_e32 v69, v249                                    // 000000022F2C: 7E8A03F9
	v_cndmask_b32_e64 v248, v68, v64, s[42:43]                 // 000000022F30: D10000F8 00AA8144
	v_cndmask_b32_e64 v250, v68, v65, s[78:79]                 // 000000022F38: D10000FA 013A8344
	v_cndmask_b32_e64 v249, v69, v66, s[42:43]                 // 000000022F40: D10000F9 00AA8545
	v_cndmask_b32_e64 v251, v69, v67, s[78:79]                 // 000000022F48: D10000FB 013A8745
	v_mov_b32_dpp v64, v58 row_shr:4 row_mask:0xf bank_mask:0xf// 000000022F50: 7E8002FA FF01143A
	v_mov_b32_dpp v65, v58 row_shl:4 row_mask:0xf bank_mask:0xf// 000000022F58: 7E8202FA FF01043A
	v_cndmask_b32_e64 v252, v58, v64, s[44:45]                 // 000000022F60: D10000FC 00B2813A
	v_cndmask_b32_e64 v253, v65, v58, s[44:45]                 // 000000022F68: D10000FD 00B27541
	v_mov_b32_dpp v64, v252 row_shr:8 row_mask:0xf bank_mask:0xf// 000000022F70: 7E8002FA FF0118FC
	v_mov_b32_dpp v65, v252 row_shl:8 row_mask:0xf bank_mask:0xf// 000000022F78: 7E8202FA FF0108FC
	v_mov_b32_dpp v66, v253 row_shr:8 row_mask:0xf bank_mask:0xf// 000000022F80: 7E8402FA FF0118FD
	v_mov_b32_dpp v67, v253 row_shl:8 row_mask:0xf bank_mask:0xf// 000000022F88: 7E8602FA FF0108FD
	v_mov_b32_e32 v68, v252                                    // 000000022F90: 7E8803FC
	v_mov_b32_e32 v69, v253                                    // 000000022F94: 7E8A03FD
	v_cndmask_b32_e64 v252, v68, v64, s[42:43]                 // 000000022F98: D10000FC 00AA8144
	v_cndmask_b32_e64 v254, v68, v65, s[78:79]                 // 000000022FA0: D10000FE 013A8344
	v_cndmask_b32_e64 v253, v69, v66, s[42:43]                 // 000000022FA8: D10000FD 00AA8545
	v_cndmask_b32_e64 v255, v69, v67, s[78:79]                 // 000000022FB0: D10000FF 013A8745
	v_cvt_f32_i32_e32 v128, v128                               // 000000022FB8: 7F000B80
	v_cvt_f32_i32_e32 v129, v129                               // 000000022FBC: 7F020B81
	v_cvt_f32_i32_e32 v130, v130                               // 000000022FC0: 7F040B82
	v_cvt_f32_i32_e32 v131, v131                               // 000000022FC4: 7F060B83
	v_cvt_f32_i32_e32 v132, v132                               // 000000022FC8: 7F080B84
	v_cvt_f32_i32_e32 v133, v133                               // 000000022FCC: 7F0A0B85
	v_cvt_f32_i32_e32 v134, v134                               // 000000022FD0: 7F0C0B86
	v_cvt_f32_i32_e32 v135, v135                               // 000000022FD4: 7F0E0B87
	v_cvt_f32_i32_e32 v136, v136                               // 000000022FD8: 7F100B88
	v_cvt_f32_i32_e32 v137, v137                               // 000000022FDC: 7F120B89
	v_cvt_f32_i32_e32 v138, v138                               // 000000022FE0: 7F140B8A
	v_cvt_f32_i32_e32 v139, v139                               // 000000022FE4: 7F160B8B
	v_cvt_f32_i32_e32 v140, v140                               // 000000022FE8: 7F180B8C
	v_cvt_f32_i32_e32 v141, v141                               // 000000022FEC: 7F1A0B8D
	v_cvt_f32_i32_e32 v142, v142                               // 000000022FF0: 7F1C0B8E
	v_cvt_f32_i32_e32 v143, v143                               // 000000022FF4: 7F1E0B8F
	v_mul_f32_e32 v128, v19, v128                              // 000000022FF8: 0B010113
	v_mul_f32_e32 v129, v19, v129                              // 000000022FFC: 0B030313
	v_mul_f32_e32 v130, v19, v130                              // 000000023000: 0B050513
	v_mul_f32_e32 v131, v19, v131                              // 000000023004: 0B070713
	v_mul_f32_e32 v132, v19, v132                              // 000000023008: 0B090913
	v_mul_f32_e32 v133, v19, v133                              // 00000002300C: 0B0B0B13
	v_mul_f32_e32 v134, v19, v134                              // 000000023010: 0B0D0D13
	v_mul_f32_e32 v135, v19, v135                              // 000000023014: 0B0F0F13
	v_mul_f32_e32 v136, v19, v136                              // 000000023018: 0B111113
	v_mul_f32_e32 v137, v19, v137                              // 00000002301C: 0B131313
	v_mul_f32_e32 v138, v19, v138                              // 000000023020: 0B151513
	v_mul_f32_e32 v139, v19, v139                              // 000000023024: 0B171713
	v_mul_f32_e32 v140, v19, v140                              // 000000023028: 0B191913
	v_mul_f32_e32 v141, v19, v141                              // 00000002302C: 0B1B1B13
	v_mul_f32_e32 v142, v19, v142                              // 000000023030: 0B1D1D13
	v_mul_f32_e32 v143, v19, v143                              // 000000023034: 0B1F1F13
	v_mul_f32_dpp v128, v248, v128 quad_perm:[0,0,0,0] row_mask:0xf bank_mask:0xf// 000000023038: 0B0100FA FF0000F8
	v_mul_f32_dpp v129, v248, v129 quad_perm:[1,1,1,1] row_mask:0xf bank_mask:0xf// 000000023040: 0B0302FA FF0055F8
	v_mul_f32_dpp v130, v248, v130 quad_perm:[2,2,2,2] row_mask:0xf bank_mask:0xf// 000000023048: 0B0504FA FF00AAF8
	v_mul_f32_dpp v131, v248, v131 quad_perm:[3,3,3,3] row_mask:0xf bank_mask:0xf// 000000023050: 0B0706FA FF00FFF8
	v_mul_f32_dpp v132, v249, v132 quad_perm:[0,0,0,0] row_mask:0xf bank_mask:0xf// 000000023058: 0B0908FA FF0000F9
	v_mul_f32_dpp v133, v249, v133 quad_perm:[1,1,1,1] row_mask:0xf bank_mask:0xf// 000000023060: 0B0B0AFA FF0055F9
	v_mul_f32_dpp v134, v249, v134 quad_perm:[2,2,2,2] row_mask:0xf bank_mask:0xf// 000000023068: 0B0D0CFA FF00AAF9
	v_mul_f32_dpp v135, v249, v135 quad_perm:[3,3,3,3] row_mask:0xf bank_mask:0xf// 000000023070: 0B0F0EFA FF00FFF9
	v_mul_f32_dpp v136, v250, v136 quad_perm:[0,0,0,0] row_mask:0xf bank_mask:0xf// 000000023078: 0B1110FA FF0000FA
	v_mul_f32_dpp v137, v250, v137 quad_perm:[1,1,1,1] row_mask:0xf bank_mask:0xf// 000000023080: 0B1312FA FF0055FA
	v_mul_f32_dpp v138, v250, v138 quad_perm:[2,2,2,2] row_mask:0xf bank_mask:0xf// 000000023088: 0B1514FA FF00AAFA
	v_mul_f32_dpp v139, v250, v139 quad_perm:[3,3,3,3] row_mask:0xf bank_mask:0xf// 000000023090: 0B1716FA FF00FFFA
	v_mul_f32_dpp v140, v251, v140 quad_perm:[0,0,0,0] row_mask:0xf bank_mask:0xf// 000000023098: 0B1918FA FF0000FB
	v_mul_f32_dpp v141, v251, v141 quad_perm:[1,1,1,1] row_mask:0xf bank_mask:0xf// 0000000230A0: 0B1B1AFA FF0055FB
	v_mul_f32_dpp v142, v251, v142 quad_perm:[2,2,2,2] row_mask:0xf bank_mask:0xf// 0000000230A8: 0B1D1CFA FF00AAFB
	v_mul_f32_dpp v143, v251, v143 quad_perm:[3,3,3,3] row_mask:0xf bank_mask:0xf// 0000000230B0: 0B1F1EFA FF00FFFB
	v_mov_b32_e32 v48, v128                                    // 0000000230B8: 7E600380
	v_max3_f32 v48, v128, v129, v48                            // 0000000230BC: D1D30030 04C30380
	v_max3_f32 v48, v130, v131, v48                            // 0000000230C4: D1D30030 04C30782
	v_max3_f32 v48, v132, v133, v48                            // 0000000230CC: D1D30030 04C30B84
	v_max3_f32 v48, v134, v135, v48                            // 0000000230D4: D1D30030 04C30F86
	v_max3_f32 v48, v136, v137, v48                            // 0000000230DC: D1D30030 04C31388
	v_max3_f32 v48, v138, v139, v48                            // 0000000230E4: D1D30030 04C3178A
	v_max3_f32 v48, v140, v141, v48                            // 0000000230EC: D1D30030 04C31B8C
	v_max3_f32 v48, v142, v143, v48                            // 0000000230F4: D1D30030 04C31F8E
	ds_write_b32 v8, v48 offset:16896                          // 0000000230FC: D81A4200 00003008
	v_mul_f32_e32 v216, v50, v216                              // 000000023104: 0BB1B132
	v_mul_f32_e32 v217, v50, v217                              // 000000023108: 0BB3B332
	v_mul_f32_e32 v218, v50, v218                              // 00000002310C: 0BB5B532
	v_mul_f32_e32 v219, v50, v219                              // 000000023110: 0BB7B732
	v_mul_f32_e32 v220, v50, v220                              // 000000023114: 0BB9B932
	v_mul_f32_e32 v221, v50, v221                              // 000000023118: 0BBBBB32
	v_mul_f32_e32 v222, v50, v222                              // 00000002311C: 0BBDBD32
	v_mul_f32_e32 v223, v50, v223                              // 000000023120: 0BBFBF32
	s_waitcnt lgkmcnt(0)                                       // 000000023124: BF8CC07F
	s_barrier                                                  // 000000023128: BF8A0000
	ds_read_b32 v64, v7 offset:16896                           // 00000002312C: D86C4200 40000007
	ds_read_b32 v65, v7 offset:16960                           // 000000023134: D86C4240 41000007
	ds_read_b32 v66, v7 offset:17024                           // 00000002313C: D86C4280 42000007
	ds_read_b32 v67, v7 offset:17088                           // 000000023144: D86C42C0 43000007
	ds_read_b32 v68, v7 offset:17152                           // 00000002314C: D86C4300 44000007
	ds_read_b32 v69, v7 offset:17216                           // 000000023154: D86C4340 45000007
	ds_read_b32 v70, v7 offset:17280                           // 00000002315C: D86C4380 46000007
	ds_read_b32 v71, v7 offset:17344                           // 000000023164: D86C43C0 47000007
	ds_read_b32 v72, v7 offset:17408                           // 00000002316C: D86C4400 48000007
	ds_read_b32 v73, v7 offset:17472                           // 000000023174: D86C4440 49000007
	ds_read_b32 v74, v7 offset:17536                           // 00000002317C: D86C4480 4A000007
	ds_read_b32 v75, v7 offset:17600                           // 000000023184: D86C44C0 4B000007
	ds_read_b32 v76, v7 offset:17664                           // 00000002318C: D86C4500 4C000007
	ds_read_b32 v77, v7 offset:17728                           // 000000023194: D86C4540 4D000007
	ds_read_b32 v78, v7 offset:17792                           // 00000002319C: D86C4580 4E000007
	ds_read_b32 v79, v7 offset:17856                           // 0000000231A4: D86C45C0 4F000007
	v_cvt_f32_i32_e32 v184, v184                               // 0000000231AC: 7F700BB8
	v_cvt_f32_i32_e32 v185, v185                               // 0000000231B0: 7F720BB9
	v_cvt_f32_i32_e32 v186, v186                               // 0000000231B4: 7F740BBA
	v_cvt_f32_i32_e32 v187, v187                               // 0000000231B8: 7F760BBB
	v_cvt_f32_i32_e32 v188, v188                               // 0000000231BC: 7F780BBC
	v_cvt_f32_i32_e32 v189, v189                               // 0000000231C0: 7F7A0BBD
	v_cvt_f32_i32_e32 v190, v190                               // 0000000231C4: 7F7C0BBE
	v_cvt_f32_i32_e32 v191, v191                               // 0000000231C8: 7F7E0BBF
	v_mul_f32_e32 v184, v45, v184                              // 0000000231CC: 0B71712D
	v_mul_f32_e32 v185, v45, v185                              // 0000000231D0: 0B73732D
	v_mul_f32_e32 v186, v45, v186                              // 0000000231D4: 0B75752D
	v_mul_f32_e32 v187, v45, v187                              // 0000000231D8: 0B77772D
	v_mul_f32_e32 v188, v45, v188                              // 0000000231DC: 0B79792D
	v_mul_f32_e32 v189, v45, v189                              // 0000000231E0: 0B7B7B2D
	v_mul_f32_e32 v190, v45, v190                              // 0000000231E4: 0B7D7D2D
	v_mul_f32_e32 v191, v45, v191                              // 0000000231E8: 0B7F7F2D
	s_waitcnt lgkmcnt(0)                                       // 0000000231EC: BF8CC07F
	v_max3_f32 v48, v64, v65, v48                              // 0000000231F0: D1D30030 04C28340
	v_max3_f32 v48, v66, v67, v48                              // 0000000231F8: D1D30030 04C28742
	v_max3_f32 v48, v68, v69, v48                              // 000000023200: D1D30030 04C28B44
	v_max3_f32 v48, v70, v71, v48                              // 000000023208: D1D30030 04C28F46
	v_max3_f32 v48, v72, v73, v48                              // 000000023210: D1D30030 04C29348
	v_max3_f32 v48, v74, v75, v48                              // 000000023218: D1D30030 04C2974A
	v_max3_f32 v48, v76, v77, v48                              // 000000023220: D1D30030 04C29B4C
	v_max3_f32 v48, v78, v79, v48                              // 000000023228: D1D30030 04C29F4E
	v_mov_b32_e32 v64, 0xff800000                              // 000000023230: 7E8002FF FF800000
	v_cmp_eq_u32_e64 s[40:41], v64, v12                        // 000000023238: D0CA0028 00021940
	s_nop 1                                                    // 000000023240: BF800001
	v_max_f32_e32 v15, v48, v12                                // 000000023244: 161E1930
	v_mul_f32_e32 v53, s64, v15                                // 000000023248: 0A6A1E40
	v_fma_f32 v128, v128, s64, -v53                            // 00000002324C: D1CB0080 84D48180
	v_fma_f32 v129, v129, s64, -v53                            // 000000023254: D1CB0081 84D48181
	v_fma_f32 v130, v130, s64, -v53                            // 00000002325C: D1CB0082 84D48182
	v_fma_f32 v131, v131, s64, -v53                            // 000000023264: D1CB0083 84D48183
	v_fma_f32 v132, v132, s64, -v53                            // 00000002326C: D1CB0084 84D48184
	v_fma_f32 v133, v133, s64, -v53                            // 000000023274: D1CB0085 84D48185
	v_fma_f32 v134, v134, s64, -v53                            // 00000002327C: D1CB0086 84D48186
	v_fma_f32 v135, v135, s64, -v53                            // 000000023284: D1CB0087 84D48187
	v_fma_f32 v136, v136, s64, -v53                            // 00000002328C: D1CB0088 84D48188
	v_fma_f32 v137, v137, s64, -v53                            // 000000023294: D1CB0089 84D48189
	v_fma_f32 v138, v138, s64, -v53                            // 00000002329C: D1CB008A 84D4818A
	v_fma_f32 v139, v139, s64, -v53                            // 0000000232A4: D1CB008B 84D4818B
	v_fma_f32 v140, v140, s64, -v53                            // 0000000232AC: D1CB008C 84D4818C
	v_fma_f32 v141, v141, s64, -v53                            // 0000000232B4: D1CB008D 84D4818D
	v_fma_f32 v142, v142, s64, -v53                            // 0000000232BC: D1CB008E 84D4818E
	v_fma_f32 v143, v143, s64, -v53                            // 0000000232C4: D1CB008F 84D4818F
	v_exp_f32_e32 v128, v128                                   // 0000000232CC: 7F004180
	v_exp_f32_e32 v129, v129                                   // 0000000232D0: 7F024181
	v_exp_f32_e32 v130, v130                                   // 0000000232D4: 7F044182
	v_exp_f32_e32 v131, v131                                   // 0000000232D8: 7F064183
	v_exp_f32_e32 v132, v132                                   // 0000000232DC: 7F084184
	v_exp_f32_e32 v133, v133                                   // 0000000232E0: 7F0A4185
	v_exp_f32_e32 v134, v134                                   // 0000000232E4: 7F0C4186
	v_exp_f32_e32 v135, v135                                   // 0000000232E8: 7F0E4187
	v_exp_f32_e32 v136, v136                                   // 0000000232EC: 7F104188
	v_exp_f32_e32 v137, v137                                   // 0000000232F0: 7F124189
	v_exp_f32_e32 v138, v138                                   // 0000000232F4: 7F14418A
	v_exp_f32_e32 v139, v139                                   // 0000000232F8: 7F16418B
	v_exp_f32_e32 v140, v140                                   // 0000000232FC: 7F18418C
	v_exp_f32_e32 v141, v141                                   // 000000023300: 7F1A418D
	v_exp_f32_e32 v142, v142                                   // 000000023304: 7F1C418E
	v_exp_f32_e32 v143, v143                                   // 000000023308: 7F1E418F
	v_mul_f32_dpp v240, v252, v128 quad_perm:[0,0,0,0] row_mask:0xf bank_mask:0xf// 00000002330C: 0BE100FA FF0000FC
	v_mul_f32_dpp v241, v252, v129 quad_perm:[1,1,1,1] row_mask:0xf bank_mask:0xf// 000000023314: 0BE302FA FF0055FC
	v_mul_f32_dpp v242, v252, v130 quad_perm:[2,2,2,2] row_mask:0xf bank_mask:0xf// 00000002331C: 0BE504FA FF00AAFC
	v_mul_f32_dpp v243, v252, v131 quad_perm:[3,3,3,3] row_mask:0xf bank_mask:0xf// 000000023324: 0BE706FA FF00FFFC
	v_mul_f32_dpp v244, v253, v132 quad_perm:[0,0,0,0] row_mask:0xf bank_mask:0xf// 00000002332C: 0BE908FA FF0000FD
	v_mul_f32_dpp v245, v253, v133 quad_perm:[1,1,1,1] row_mask:0xf bank_mask:0xf// 000000023334: 0BEB0AFA FF0055FD
	v_mul_f32_dpp v246, v253, v134 quad_perm:[2,2,2,2] row_mask:0xf bank_mask:0xf// 00000002333C: 0BED0CFA FF00AAFD
	v_mul_f32_dpp v247, v253, v135 quad_perm:[3,3,3,3] row_mask:0xf bank_mask:0xf// 000000023344: 0BEF0EFA FF00FFFD
	v_mul_f32_dpp v248, v254, v136 quad_perm:[0,0,0,0] row_mask:0xf bank_mask:0xf// 00000002334C: 0BF110FA FF0000FE
	v_mul_f32_dpp v249, v254, v137 quad_perm:[1,1,1,1] row_mask:0xf bank_mask:0xf// 000000023354: 0BF312FA FF0055FE
	v_mul_f32_dpp v250, v254, v138 quad_perm:[2,2,2,2] row_mask:0xf bank_mask:0xf// 00000002335C: 0BF514FA FF00AAFE
	v_mul_f32_dpp v251, v254, v139 quad_perm:[3,3,3,3] row_mask:0xf bank_mask:0xf// 000000023364: 0BF716FA FF00FFFE
	v_mul_f32_dpp v252, v255, v140 quad_perm:[0,0,0,0] row_mask:0xf bank_mask:0xf// 00000002336C: 0BF918FA FF0000FF
	v_mul_f32_dpp v253, v255, v141 quad_perm:[1,1,1,1] row_mask:0xf bank_mask:0xf// 000000023374: 0BFB1AFA FF0055FF
	v_mul_f32_dpp v254, v255, v142 quad_perm:[2,2,2,2] row_mask:0xf bank_mask:0xf// 00000002337C: 0BFD1CFA FF00AAFF
	v_mul_f32_dpp v255, v255, v143 quad_perm:[3,3,3,3] row_mask:0xf bank_mask:0xf// 000000023384: 0BFF1EFA FF00FFFF
	v_mov_b32_e32 v48, 0x358637bd                              // 00000002338C: 7E6002FF 358637BD
	v_max3_f32 v48, |v240|, |v241|, v48                        // 000000023394: D1D30330 04C3E3F0
	v_max3_f32 v48, |v242|, |v243|, v48                        // 00000002339C: D1D30330 04C3E7F2
	v_max3_f32 v48, |v244|, |v245|, v48                        // 0000000233A4: D1D30330 04C3EBF4
	v_max3_f32 v48, |v246|, |v247|, v48                        // 0000000233AC: D1D30330 04C3EFF6
	v_max3_f32 v48, |v248|, |v249|, v48                        // 0000000233B4: D1D30330 04C3F3F8
	v_max3_f32 v48, |v250|, |v251|, v48                        // 0000000233BC: D1D30330 04C3F7FA
	v_max3_f32 v48, |v252|, |v253|, v48                        // 0000000233C4: D1D30330 04C3FBFC
	v_max3_f32 v48, |v254|, |v255|, v48                        // 0000000233CC: D1D30330 04C3FFFE
	ds_write_b32 v8, v48 offset:20992                          // 0000000233D4: D81A5200 00003008
	v_sub_f32_e32 v50, v12, v15                                // 0000000233DC: 04641F0C
	v_cndmask_b32_e64 v50, v50, 0, s[40:41]                    // 0000000233E0: D1000032 00A10132
	v_mov_b32_e32 v12, v15                                     // 0000000233E8: 7E18030F
	v_mul_f32_e32 v50, s64, v50                                // 0000000233EC: 0A646440
	v_exp_f32_e32 v50, v50                                     // 0000000233F0: 7E644132
	s_waitcnt lgkmcnt(0)                                       // 0000000233F4: BF8CC07F
	s_barrier                                                  // 0000000233F8: BF8A0000
	ds_read_b32 v64, v7 offset:20992                           // 0000000233FC: D86C5200 40000007
	ds_read_b32 v65, v7 offset:21056                           // 000000023404: D86C5240 41000007
	ds_read_b32 v66, v7 offset:21120                           // 00000002340C: D86C5280 42000007
	ds_read_b32 v67, v7 offset:21184                           // 000000023414: D86C52C0 43000007
	ds_read_b32 v68, v7 offset:21248                           // 00000002341C: D86C5300 44000007
	ds_read_b32 v69, v7 offset:21312                           // 000000023424: D86C5340 45000007
	ds_read_b32 v70, v7 offset:21376                           // 00000002342C: D86C5380 46000007
	ds_read_b32 v71, v7 offset:21440                           // 000000023434: D86C53C0 47000007
	ds_read_b32 v72, v7 offset:21504                           // 00000002343C: D86C5400 48000007
	ds_read_b32 v73, v7 offset:21568                           // 000000023444: D86C5440 49000007
	ds_read_b32 v74, v7 offset:21632                           // 00000002344C: D86C5480 4A000007
	ds_read_b32 v75, v7 offset:21696                           // 000000023454: D86C54C0 4B000007
	ds_read_b32 v76, v7 offset:21760                           // 00000002345C: D86C5500 4C000007
	ds_read_b32 v77, v7 offset:21824                           // 000000023464: D86C5540 4D000007
	ds_read_b32 v78, v7 offset:21888                           // 00000002346C: D86C5580 4E000007
	ds_read_b32 v79, v7 offset:21952                           // 000000023474: D86C55C0 4F000007
	v_mul_f32_e32 v39, v50, v39                                // 00000002347C: 0A4E4F32
	v_mov_b32_e32 v15, v128                                    // 000000023480: 7E1E0380
	v_add_f32_e32 v15, v129, v15                               // 000000023484: 021E1F81
	v_add_f32_e32 v15, v130, v15                               // 000000023488: 021E1F82
	v_add_f32_e32 v15, v131, v15                               // 00000002348C: 021E1F83
	v_add_f32_e32 v15, v132, v15                               // 000000023490: 021E1F84
	v_add_f32_e32 v15, v133, v15                               // 000000023494: 021E1F85
	v_add_f32_e32 v15, v134, v15                               // 000000023498: 021E1F86
	v_add_f32_e32 v15, v135, v15                               // 00000002349C: 021E1F87
	v_add_f32_e32 v15, v136, v15                               // 0000000234A0: 021E1F88
	v_add_f32_e32 v15, v137, v15                               // 0000000234A4: 021E1F89
	v_add_f32_e32 v15, v138, v15                               // 0000000234A8: 021E1F8A
	v_add_f32_e32 v15, v139, v15                               // 0000000234AC: 021E1F8B
	v_add_f32_e32 v15, v140, v15                               // 0000000234B0: 021E1F8C
	v_add_f32_e32 v15, v141, v15                               // 0000000234B4: 021E1F8D
	v_add_f32_e32 v15, v142, v15                               // 0000000234B8: 021E1F8E
	v_add_f32_e32 v15, v143, v15                               // 0000000234BC: 021E1F8F
	v_add_f32_e32 v39, v15, v39                                // 0000000234C0: 024E4F0F
	s_waitcnt lgkmcnt(0)                                       // 0000000234C4: BF8CC07F
	v_max3_f32 v48, |v64|, |v65|, v48                          // 0000000234C8: D1D30330 04C28340
	v_max3_f32 v48, |v66|, |v67|, v48                          // 0000000234D0: D1D30330 04C28742
	v_max3_f32 v48, |v68|, |v69|, v48                          // 0000000234D8: D1D30330 04C28B44
	v_max3_f32 v48, |v70|, |v71|, v48                          // 0000000234E0: D1D30330 04C28F46
	v_max3_f32 v48, |v72|, |v73|, v48                          // 0000000234E8: D1D30330 04C29348
	v_max3_f32 v48, |v74|, |v75|, v48                          // 0000000234F0: D1D30330 04C2974A
	v_max3_f32 v48, |v76|, |v77|, v48                          // 0000000234F8: D1D30330 04C29B4C
	v_max3_f32 v48, |v78|, |v79|, v48                          // 000000023500: D1D30330 04C29F4E
	s_nop 2                                                    // 000000023508: BF800002
	v_rcp_f32_e32 v48, v48                                     // 00000002350C: 7E604530
	s_nop 1                                                    // 000000023510: BF800001
	v_mul_f32_e32 v48, 0x42fe0000, v48                         // 000000023514: 0A6060FF 42FE0000
	v_mul_f32_e32 v128, v48, v240                              // 00000002351C: 0B01E130
	v_mul_f32_e32 v129, v48, v241                              // 000000023520: 0B03E330
	v_mul_f32_e32 v130, v48, v242                              // 000000023524: 0B05E530
	v_mul_f32_e32 v131, v48, v243                              // 000000023528: 0B07E730
	v_mul_f32_e32 v132, v48, v244                              // 00000002352C: 0B09E930
	v_mul_f32_e32 v133, v48, v245                              // 000000023530: 0B0BEB30
	v_mul_f32_e32 v134, v48, v246                              // 000000023534: 0B0DED30
	v_mul_f32_e32 v135, v48, v247                              // 000000023538: 0B0FEF30
	v_mul_f32_e32 v136, v48, v248                              // 00000002353C: 0B11F130
	v_mul_f32_e32 v137, v48, v249                              // 000000023540: 0B13F330
	v_mul_f32_e32 v138, v48, v250                              // 000000023544: 0B15F530
	v_mul_f32_e32 v139, v48, v251                              // 000000023548: 0B17F730
	v_mul_f32_e32 v140, v48, v252                              // 00000002354C: 0B19F930
	v_mul_f32_e32 v141, v48, v253                              // 000000023550: 0B1BFB30
	v_mul_f32_e32 v142, v48, v254                              // 000000023554: 0B1DFD30
	v_mul_f32_e32 v143, v48, v255                              // 000000023558: 0B1FFF30
	v_cvt_i32_f32_e32 v128, v128                               // 00000002355C: 7F001180
	v_cvt_i32_f32_e32 v129, v129                               // 000000023560: 7F021181
	v_cvt_i32_f32_e32 v130, v130                               // 000000023564: 7F041182
	v_cvt_i32_f32_e32 v131, v131                               // 000000023568: 7F061183
	v_cvt_i32_f32_e32 v132, v132                               // 00000002356C: 7F081184
	v_cvt_i32_f32_e32 v133, v133                               // 000000023570: 7F0A1185
	v_cvt_i32_f32_e32 v134, v134                               // 000000023574: 7F0C1186
	v_cvt_i32_f32_e32 v135, v135                               // 000000023578: 7F0E1187
	v_cvt_i32_f32_e32 v136, v136                               // 00000002357C: 7F101188
	v_cvt_i32_f32_e32 v137, v137                               // 000000023580: 7F121189
	v_cvt_i32_f32_e32 v138, v138                               // 000000023584: 7F14118A
	v_cvt_i32_f32_e32 v139, v139                               // 000000023588: 7F16118B
	v_cvt_i32_f32_e32 v140, v140                               // 00000002358C: 7F18118C
	v_cvt_i32_f32_e32 v141, v141                               // 000000023590: 7F1A118D
	v_cvt_i32_f32_e32 v142, v142                               // 000000023594: 7F1C118E
	v_cvt_i32_f32_e32 v143, v143                               // 000000023598: 7F1E118F
	v_perm_b32 v128, v129, v128, s53                           // 00000002359C: D1ED0080 00D70181
	v_perm_b32 v128, v130, v128, s54                           // 0000000235A4: D1ED0080 00DB0182
	v_perm_b32 v128, v131, v128, s55                           // 0000000235AC: D1ED0080 00DF0183
	v_perm_b32 v129, v133, v132, s53                           // 0000000235B4: D1ED0081 00D70985
	v_perm_b32 v129, v134, v129, s54                           // 0000000235BC: D1ED0081 00DB0386
	v_perm_b32 v129, v135, v129, s55                           // 0000000235C4: D1ED0081 00DF0387
	v_perm_b32 v130, v137, v136, s53                           // 0000000235CC: D1ED0082 00D71189
	v_perm_b32 v130, v138, v130, s54                           // 0000000235D4: D1ED0082 00DB058A
	v_perm_b32 v130, v139, v130, s55                           // 0000000235DC: D1ED0082 00DF058B
	v_perm_b32 v131, v141, v140, s53                           // 0000000235E4: D1ED0083 00D7198D
	v_perm_b32 v131, v142, v131, s54                           // 0000000235EC: D1ED0083 00DB078E
	v_perm_b32 v131, v143, v131, s55                           // 0000000235F4: D1ED0083 00DF078F
	ds_write_b32 v10, v128 offset:29184                        // 0000000235FC: D81A7200 0000800A
	ds_write_b32 v10, v129 offset:30208                        // 000000023604: D81A7600 0000810A
	ds_write_b32 v10, v130 offset:31232                        // 00000002360C: D81A7A00 0000820A
	ds_write_b32 v10, v131 offset:32256                        // 000000023614: D81A7E00 0000830A
	v_add_f32_e32 v216, v216, v184                             // 00000002361C: 03B171D8
	v_add_f32_e32 v217, v217, v185                             // 000000023620: 03B373D9
	v_add_f32_e32 v218, v218, v186                             // 000000023624: 03B575DA
	v_add_f32_e32 v219, v219, v187                             // 000000023628: 03B777DB
	v_add_f32_e32 v220, v220, v188                             // 00000002362C: 03B979DC
	v_add_f32_e32 v221, v221, v189                             // 000000023630: 03BB7BDD
	v_add_f32_e32 v222, v222, v190                             // 000000023634: 03BD7DDE
	v_add_f32_e32 v223, v223, v191                             // 000000023638: 03BF7FDF
	v_rcp_f32_e32 v45, v48                                     // 00000002363C: 7E5A4530
	s_waitcnt lgkmcnt(0)                                       // 000000023640: BF8CC07F
	s_barrier                                                  // 000000023644: BF8A0000
	ds_read_b64 v[128:129], v9 offset:29184                    // 000000023648: D8EC7200 80000009
	ds_read_b64 v[130:131], v9 offset:29312                    // 000000023650: D8EC7280 82000009
	ds_read_b64 v[132:133], v9 offset:30208                    // 000000023658: D8EC7600 84000009
	ds_read_b64 v[134:135], v9 offset:30336                    // 000000023660: D8EC7680 86000009
	ds_read_b64 v[136:137], v9 offset:31232                    // 000000023668: D8EC7A00 88000009
	ds_read_b64 v[138:139], v9 offset:31360                    // 000000023670: D8EC7A80 8A000009
	ds_read_b64 v[140:141], v9 offset:32256                    // 000000023678: D8EC7E00 8C000009
	ds_read_b64 v[142:143], v9 offset:32384                    // 000000023680: D8EC7E80 8E000009
	v_mov_b32_dpp v64, v43 row_shr:4 row_mask:0xf bank_mask:0xf// 000000023688: 7E8002FA FF01142B
	v_mov_b32_dpp v65, v43 row_shl:4 row_mask:0xf bank_mask:0xf// 000000023690: 7E8202FA FF01042B
	v_cndmask_b32_e64 v248, v43, v64, s[44:45]                 // 000000023698: D10000F8 00B2812B
	v_cndmask_b32_e64 v249, v65, v43, s[44:45]                 // 0000000236A0: D10000F9 00B25741
	v_mov_b32_dpp v64, v248 row_shr:8 row_mask:0xf bank_mask:0xf// 0000000236A8: 7E8002FA FF0118F8
	v_mov_b32_dpp v65, v248 row_shl:8 row_mask:0xf bank_mask:0xf// 0000000236B0: 7E8202FA FF0108F8
	v_mov_b32_dpp v66, v249 row_shr:8 row_mask:0xf bank_mask:0xf// 0000000236B8: 7E8402FA FF0118F9
	v_mov_b32_dpp v67, v249 row_shl:8 row_mask:0xf bank_mask:0xf// 0000000236C0: 7E8602FA FF0108F9
	v_mov_b32_e32 v68, v248                                    // 0000000236C8: 7E8803F8
	v_mov_b32_e32 v69, v249                                    // 0000000236CC: 7E8A03F9
	v_cndmask_b32_e64 v248, v68, v64, s[42:43]                 // 0000000236D0: D10000F8 00AA8144
	v_cndmask_b32_e64 v250, v68, v65, s[78:79]                 // 0000000236D8: D10000FA 013A8344
	v_cndmask_b32_e64 v249, v69, v66, s[42:43]                 // 0000000236E0: D10000F9 00AA8545
	v_cndmask_b32_e64 v251, v69, v67, s[78:79]                 // 0000000236E8: D10000FB 013A8745
	v_mov_b32_dpp v64, v58 row_shr:4 row_mask:0xf bank_mask:0xf// 0000000236F0: 7E8002FA FF01143A
	v_mov_b32_dpp v65, v58 row_shl:4 row_mask:0xf bank_mask:0xf// 0000000236F8: 7E8202FA FF01043A
	v_cndmask_b32_e64 v252, v58, v64, s[44:45]                 // 000000023700: D10000FC 00B2813A
	v_cndmask_b32_e64 v253, v65, v58, s[44:45]                 // 000000023708: D10000FD 00B27541
	v_mov_b32_dpp v64, v252 row_shr:8 row_mask:0xf bank_mask:0xf// 000000023710: 7E8002FA FF0118FC
	v_mov_b32_dpp v65, v252 row_shl:8 row_mask:0xf bank_mask:0xf// 000000023718: 7E8202FA FF0108FC
	v_mov_b32_dpp v66, v253 row_shr:8 row_mask:0xf bank_mask:0xf// 000000023720: 7E8402FA FF0118FD
	v_mov_b32_dpp v67, v253 row_shl:8 row_mask:0xf bank_mask:0xf// 000000023728: 7E8602FA FF0108FD
	v_mov_b32_e32 v68, v252                                    // 000000023730: 7E8803FC
	v_mov_b32_e32 v69, v253                                    // 000000023734: 7E8A03FD
	v_cndmask_b32_e64 v252, v68, v64, s[42:43]                 // 000000023738: D10000FC 00AA8144
	v_cndmask_b32_e64 v254, v68, v65, s[78:79]                 // 000000023740: D10000FE 013A8344
	v_cndmask_b32_e64 v253, v69, v66, s[42:43]                 // 000000023748: D10000FD 00AA8545
	v_cndmask_b32_e64 v255, v69, v67, s[78:79]                 // 000000023750: D10000FF 013A8745
	v_cvt_f32_i32_e32 v144, v144                               // 000000023758: 7F200B90
	v_cvt_f32_i32_e32 v145, v145                               // 00000002375C: 7F220B91
	v_cvt_f32_i32_e32 v146, v146                               // 000000023760: 7F240B92
	v_cvt_f32_i32_e32 v147, v147                               // 000000023764: 7F260B93
	v_cvt_f32_i32_e32 v148, v148                               // 000000023768: 7F280B94
	v_cvt_f32_i32_e32 v149, v149                               // 00000002376C: 7F2A0B95
	v_cvt_f32_i32_e32 v150, v150                               // 000000023770: 7F2C0B96
	v_cvt_f32_i32_e32 v151, v151                               // 000000023774: 7F2E0B97
	v_cvt_f32_i32_e32 v152, v152                               // 000000023778: 7F300B98
	v_cvt_f32_i32_e32 v153, v153                               // 00000002377C: 7F320B99
	v_cvt_f32_i32_e32 v154, v154                               // 000000023780: 7F340B9A
	v_cvt_f32_i32_e32 v155, v155                               // 000000023784: 7F360B9B
	v_cvt_f32_i32_e32 v156, v156                               // 000000023788: 7F380B9C
	v_cvt_f32_i32_e32 v157, v157                               // 00000002378C: 7F3A0B9D
	v_cvt_f32_i32_e32 v158, v158                               // 000000023790: 7F3C0B9E
	v_cvt_f32_i32_e32 v159, v159                               // 000000023794: 7F3E0B9F
	v_mul_f32_e32 v144, v20, v144                              // 000000023798: 0B212114
	v_mul_f32_e32 v145, v20, v145                              // 00000002379C: 0B232314
	v_mul_f32_e32 v146, v20, v146                              // 0000000237A0: 0B252514
	v_mul_f32_e32 v147, v20, v147                              // 0000000237A4: 0B272714
	v_mul_f32_e32 v148, v20, v148                              // 0000000237A8: 0B292914
	v_mul_f32_e32 v149, v20, v149                              // 0000000237AC: 0B2B2B14
	v_mul_f32_e32 v150, v20, v150                              // 0000000237B0: 0B2D2D14
	v_mul_f32_e32 v151, v20, v151                              // 0000000237B4: 0B2F2F14
	v_mul_f32_e32 v152, v20, v152                              // 0000000237B8: 0B313114
	v_mul_f32_e32 v153, v20, v153                              // 0000000237BC: 0B333314
	v_mul_f32_e32 v154, v20, v154                              // 0000000237C0: 0B353514
	v_mul_f32_e32 v155, v20, v155                              // 0000000237C4: 0B373714
	v_mul_f32_e32 v156, v20, v156                              // 0000000237C8: 0B393914
	v_mul_f32_e32 v157, v20, v157                              // 0000000237CC: 0B3B3B14
	v_mul_f32_e32 v158, v20, v158                              // 0000000237D0: 0B3D3D14
	v_mul_f32_e32 v159, v20, v159                              // 0000000237D4: 0B3F3F14
	v_mul_f32_dpp v144, v248, v144 quad_perm:[0,0,0,0] row_mask:0xf bank_mask:0xf// 0000000237D8: 0B2120FA FF0000F8
	v_mul_f32_dpp v145, v248, v145 quad_perm:[1,1,1,1] row_mask:0xf bank_mask:0xf// 0000000237E0: 0B2322FA FF0055F8
	v_mul_f32_dpp v146, v248, v146 quad_perm:[2,2,2,2] row_mask:0xf bank_mask:0xf// 0000000237E8: 0B2524FA FF00AAF8
	v_mul_f32_dpp v147, v248, v147 quad_perm:[3,3,3,3] row_mask:0xf bank_mask:0xf// 0000000237F0: 0B2726FA FF00FFF8
	v_mul_f32_dpp v148, v249, v148 quad_perm:[0,0,0,0] row_mask:0xf bank_mask:0xf// 0000000237F8: 0B2928FA FF0000F9
	v_mul_f32_dpp v149, v249, v149 quad_perm:[1,1,1,1] row_mask:0xf bank_mask:0xf// 000000023800: 0B2B2AFA FF0055F9
	v_mul_f32_dpp v150, v249, v150 quad_perm:[2,2,2,2] row_mask:0xf bank_mask:0xf// 000000023808: 0B2D2CFA FF00AAF9
	v_mul_f32_dpp v151, v249, v151 quad_perm:[3,3,3,3] row_mask:0xf bank_mask:0xf// 000000023810: 0B2F2EFA FF00FFF9
	v_mul_f32_dpp v152, v250, v152 quad_perm:[0,0,0,0] row_mask:0xf bank_mask:0xf// 000000023818: 0B3130FA FF0000FA
	v_mul_f32_dpp v153, v250, v153 quad_perm:[1,1,1,1] row_mask:0xf bank_mask:0xf// 000000023820: 0B3332FA FF0055FA
	v_mul_f32_dpp v154, v250, v154 quad_perm:[2,2,2,2] row_mask:0xf bank_mask:0xf// 000000023828: 0B3534FA FF00AAFA
	v_mul_f32_dpp v155, v250, v155 quad_perm:[3,3,3,3] row_mask:0xf bank_mask:0xf// 000000023830: 0B3736FA FF00FFFA
	v_mul_f32_dpp v156, v251, v156 quad_perm:[0,0,0,0] row_mask:0xf bank_mask:0xf// 000000023838: 0B3938FA FF0000FB
	v_mul_f32_dpp v157, v251, v157 quad_perm:[1,1,1,1] row_mask:0xf bank_mask:0xf// 000000023840: 0B3B3AFA FF0055FB
	v_mul_f32_dpp v158, v251, v158 quad_perm:[2,2,2,2] row_mask:0xf bank_mask:0xf// 000000023848: 0B3D3CFA FF00AAFB
	v_mul_f32_dpp v159, v251, v159 quad_perm:[3,3,3,3] row_mask:0xf bank_mask:0xf// 000000023850: 0B3F3EFA FF00FFFB
	v_mov_b32_e32 v48, v144                                    // 000000023858: 7E600390
	v_max3_f32 v48, v144, v145, v48                            // 00000002385C: D1D30030 04C32390
	v_max3_f32 v48, v146, v147, v48                            // 000000023864: D1D30030 04C32792
	v_max3_f32 v48, v148, v149, v48                            // 00000002386C: D1D30030 04C32B94
	v_max3_f32 v48, v150, v151, v48                            // 000000023874: D1D30030 04C32F96
	v_max3_f32 v48, v152, v153, v48                            // 00000002387C: D1D30030 04C33398
	v_max3_f32 v48, v154, v155, v48                            // 000000023884: D1D30030 04C3379A
	v_max3_f32 v48, v156, v157, v48                            // 00000002388C: D1D30030 04C33B9C
	v_max3_f32 v48, v158, v159, v48                            // 000000023894: D1D30030 04C33F9E
	ds_write_b32 v8, v48 offset:16896                          // 00000002389C: D81A4200 00003008
	v_mul_f32_e32 v224, v51, v224                              // 0000000238A4: 0BC1C133
	v_mul_f32_e32 v225, v51, v225                              // 0000000238A8: 0BC3C333
	v_mul_f32_e32 v226, v51, v226                              // 0000000238AC: 0BC5C533
	v_mul_f32_e32 v227, v51, v227                              // 0000000238B0: 0BC7C733
	v_mul_f32_e32 v228, v51, v228                              // 0000000238B4: 0BC9C933
	v_mul_f32_e32 v229, v51, v229                              // 0000000238B8: 0BCBCB33
	v_mul_f32_e32 v230, v51, v230                              // 0000000238BC: 0BCDCD33
	v_mul_f32_e32 v231, v51, v231                              // 0000000238C0: 0BCFCF33
	s_waitcnt lgkmcnt(0)                                       // 0000000238C4: BF8CC07F
	s_barrier                                                  // 0000000238C8: BF8A0000
	ds_read_b32 v64, v7 offset:16896                           // 0000000238CC: D86C4200 40000007
	ds_read_b32 v65, v7 offset:16960                           // 0000000238D4: D86C4240 41000007
	ds_read_b32 v66, v7 offset:17024                           // 0000000238DC: D86C4280 42000007
	ds_read_b32 v67, v7 offset:17088                           // 0000000238E4: D86C42C0 43000007
	ds_read_b32 v68, v7 offset:17152                           // 0000000238EC: D86C4300 44000007
	ds_read_b32 v69, v7 offset:17216                           // 0000000238F4: D86C4340 45000007
	ds_read_b32 v70, v7 offset:17280                           // 0000000238FC: D86C4380 46000007
	ds_read_b32 v71, v7 offset:17344                           // 000000023904: D86C43C0 47000007
	ds_read_b32 v72, v7 offset:17408                           // 00000002390C: D86C4400 48000007
	ds_read_b32 v73, v7 offset:17472                           // 000000023914: D86C4440 49000007
	ds_read_b32 v74, v7 offset:17536                           // 00000002391C: D86C4480 4A000007
	ds_read_b32 v75, v7 offset:17600                           // 000000023924: D86C44C0 4B000007
	ds_read_b32 v76, v7 offset:17664                           // 00000002392C: D86C4500 4C000007
	ds_read_b32 v77, v7 offset:17728                           // 000000023934: D86C4540 4D000007
	ds_read_b32 v78, v7 offset:17792                           // 00000002393C: D86C4580 4E000007
	ds_read_b32 v79, v7 offset:17856                           // 000000023944: D86C45C0 4F000007
	v_cvt_f32_i32_e32 v192, v192                               // 00000002394C: 7F800BC0
	v_cvt_f32_i32_e32 v193, v193                               // 000000023950: 7F820BC1
	v_cvt_f32_i32_e32 v194, v194                               // 000000023954: 7F840BC2
	v_cvt_f32_i32_e32 v195, v195                               // 000000023958: 7F860BC3
	v_cvt_f32_i32_e32 v196, v196                               // 00000002395C: 7F880BC4
	v_cvt_f32_i32_e32 v197, v197                               // 000000023960: 7F8A0BC5
	v_cvt_f32_i32_e32 v198, v198                               // 000000023964: 7F8C0BC6
	v_cvt_f32_i32_e32 v199, v199                               // 000000023968: 7F8E0BC7
	v_mul_f32_e32 v192, v46, v192                              // 00000002396C: 0B81812E
	v_mul_f32_e32 v193, v46, v193                              // 000000023970: 0B83832E
	v_mul_f32_e32 v194, v46, v194                              // 000000023974: 0B85852E
	v_mul_f32_e32 v195, v46, v195                              // 000000023978: 0B87872E
	v_mul_f32_e32 v196, v46, v196                              // 00000002397C: 0B89892E
	v_mul_f32_e32 v197, v46, v197                              // 000000023980: 0B8B8B2E
	v_mul_f32_e32 v198, v46, v198                              // 000000023984: 0B8D8D2E
	v_mul_f32_e32 v199, v46, v199                              // 000000023988: 0B8F8F2E
	s_waitcnt lgkmcnt(0)                                       // 00000002398C: BF8CC07F
	v_max3_f32 v48, v64, v65, v48                              // 000000023990: D1D30030 04C28340
	v_max3_f32 v48, v66, v67, v48                              // 000000023998: D1D30030 04C28742
	v_max3_f32 v48, v68, v69, v48                              // 0000000239A0: D1D30030 04C28B44
	v_max3_f32 v48, v70, v71, v48                              // 0000000239A8: D1D30030 04C28F46
	v_max3_f32 v48, v72, v73, v48                              // 0000000239B0: D1D30030 04C29348
	v_max3_f32 v48, v74, v75, v48                              // 0000000239B8: D1D30030 04C2974A
	v_max3_f32 v48, v76, v77, v48                              // 0000000239C0: D1D30030 04C29B4C
	v_max3_f32 v48, v78, v79, v48                              // 0000000239C8: D1D30030 04C29F4E
	v_mov_b32_e32 v64, 0xff800000                              // 0000000239D0: 7E8002FF FF800000
	v_cmp_eq_u32_e64 s[40:41], v64, v13                        // 0000000239D8: D0CA0028 00021B40
	s_nop 1                                                    // 0000000239E0: BF800001
	v_max_f32_e32 v15, v48, v13                                // 0000000239E4: 161E1B30
	v_mul_f32_e32 v53, s64, v15                                // 0000000239E8: 0A6A1E40
	v_fma_f32 v144, v144, s64, -v53                            // 0000000239EC: D1CB0090 84D48190
	v_fma_f32 v145, v145, s64, -v53                            // 0000000239F4: D1CB0091 84D48191
	v_fma_f32 v146, v146, s64, -v53                            // 0000000239FC: D1CB0092 84D48192
	v_fma_f32 v147, v147, s64, -v53                            // 000000023A04: D1CB0093 84D48193
	v_fma_f32 v148, v148, s64, -v53                            // 000000023A0C: D1CB0094 84D48194
	v_fma_f32 v149, v149, s64, -v53                            // 000000023A14: D1CB0095 84D48195
	v_fma_f32 v150, v150, s64, -v53                            // 000000023A1C: D1CB0096 84D48196
	v_fma_f32 v151, v151, s64, -v53                            // 000000023A24: D1CB0097 84D48197
	v_fma_f32 v152, v152, s64, -v53                            // 000000023A2C: D1CB0098 84D48198
	v_fma_f32 v153, v153, s64, -v53                            // 000000023A34: D1CB0099 84D48199
	v_fma_f32 v154, v154, s64, -v53                            // 000000023A3C: D1CB009A 84D4819A
	v_fma_f32 v155, v155, s64, -v53                            // 000000023A44: D1CB009B 84D4819B
	v_fma_f32 v156, v156, s64, -v53                            // 000000023A4C: D1CB009C 84D4819C
	v_fma_f32 v157, v157, s64, -v53                            // 000000023A54: D1CB009D 84D4819D
	v_fma_f32 v158, v158, s64, -v53                            // 000000023A5C: D1CB009E 84D4819E
	v_fma_f32 v159, v159, s64, -v53                            // 000000023A64: D1CB009F 84D4819F
	v_exp_f32_e32 v144, v144                                   // 000000023A6C: 7F204190
	v_exp_f32_e32 v145, v145                                   // 000000023A70: 7F224191
	v_exp_f32_e32 v146, v146                                   // 000000023A74: 7F244192
	v_exp_f32_e32 v147, v147                                   // 000000023A78: 7F264193
	v_exp_f32_e32 v148, v148                                   // 000000023A7C: 7F284194
	v_exp_f32_e32 v149, v149                                   // 000000023A80: 7F2A4195
	v_exp_f32_e32 v150, v150                                   // 000000023A84: 7F2C4196
	v_exp_f32_e32 v151, v151                                   // 000000023A88: 7F2E4197
	v_exp_f32_e32 v152, v152                                   // 000000023A8C: 7F304198
	v_exp_f32_e32 v153, v153                                   // 000000023A90: 7F324199
	v_exp_f32_e32 v154, v154                                   // 000000023A94: 7F34419A
	v_exp_f32_e32 v155, v155                                   // 000000023A98: 7F36419B
	v_exp_f32_e32 v156, v156                                   // 000000023A9C: 7F38419C
	v_exp_f32_e32 v157, v157                                   // 000000023AA0: 7F3A419D
	v_exp_f32_e32 v158, v158                                   // 000000023AA4: 7F3C419E
	v_exp_f32_e32 v159, v159                                   // 000000023AA8: 7F3E419F
	v_mul_f32_dpp v240, v252, v144 quad_perm:[0,0,0,0] row_mask:0xf bank_mask:0xf// 000000023AAC: 0BE120FA FF0000FC
	v_mul_f32_dpp v241, v252, v145 quad_perm:[1,1,1,1] row_mask:0xf bank_mask:0xf// 000000023AB4: 0BE322FA FF0055FC
	v_mul_f32_dpp v242, v252, v146 quad_perm:[2,2,2,2] row_mask:0xf bank_mask:0xf// 000000023ABC: 0BE524FA FF00AAFC
	v_mul_f32_dpp v243, v252, v147 quad_perm:[3,3,3,3] row_mask:0xf bank_mask:0xf// 000000023AC4: 0BE726FA FF00FFFC
	v_mul_f32_dpp v244, v253, v148 quad_perm:[0,0,0,0] row_mask:0xf bank_mask:0xf// 000000023ACC: 0BE928FA FF0000FD
	v_mul_f32_dpp v245, v253, v149 quad_perm:[1,1,1,1] row_mask:0xf bank_mask:0xf// 000000023AD4: 0BEB2AFA FF0055FD
	v_mul_f32_dpp v246, v253, v150 quad_perm:[2,2,2,2] row_mask:0xf bank_mask:0xf// 000000023ADC: 0BED2CFA FF00AAFD
	v_mul_f32_dpp v247, v253, v151 quad_perm:[3,3,3,3] row_mask:0xf bank_mask:0xf// 000000023AE4: 0BEF2EFA FF00FFFD
	v_mul_f32_dpp v248, v254, v152 quad_perm:[0,0,0,0] row_mask:0xf bank_mask:0xf// 000000023AEC: 0BF130FA FF0000FE
	v_mul_f32_dpp v249, v254, v153 quad_perm:[1,1,1,1] row_mask:0xf bank_mask:0xf// 000000023AF4: 0BF332FA FF0055FE
	v_mul_f32_dpp v250, v254, v154 quad_perm:[2,2,2,2] row_mask:0xf bank_mask:0xf// 000000023AFC: 0BF534FA FF00AAFE
	v_mul_f32_dpp v251, v254, v155 quad_perm:[3,3,3,3] row_mask:0xf bank_mask:0xf// 000000023B04: 0BF736FA FF00FFFE
	v_mul_f32_dpp v252, v255, v156 quad_perm:[0,0,0,0] row_mask:0xf bank_mask:0xf// 000000023B0C: 0BF938FA FF0000FF
	v_mul_f32_dpp v253, v255, v157 quad_perm:[1,1,1,1] row_mask:0xf bank_mask:0xf// 000000023B14: 0BFB3AFA FF0055FF
	v_mul_f32_dpp v254, v255, v158 quad_perm:[2,2,2,2] row_mask:0xf bank_mask:0xf// 000000023B1C: 0BFD3CFA FF00AAFF
	v_mul_f32_dpp v255, v255, v159 quad_perm:[3,3,3,3] row_mask:0xf bank_mask:0xf// 000000023B24: 0BFF3EFA FF00FFFF
	v_mov_b32_e32 v48, 0x358637bd                              // 000000023B2C: 7E6002FF 358637BD
	v_max3_f32 v48, |v240|, |v241|, v48                        // 000000023B34: D1D30330 04C3E3F0
	v_max3_f32 v48, |v242|, |v243|, v48                        // 000000023B3C: D1D30330 04C3E7F2
	v_max3_f32 v48, |v244|, |v245|, v48                        // 000000023B44: D1D30330 04C3EBF4
	v_max3_f32 v48, |v246|, |v247|, v48                        // 000000023B4C: D1D30330 04C3EFF6
	v_max3_f32 v48, |v248|, |v249|, v48                        // 000000023B54: D1D30330 04C3F3F8
	v_max3_f32 v48, |v250|, |v251|, v48                        // 000000023B5C: D1D30330 04C3F7FA
	v_max3_f32 v48, |v252|, |v253|, v48                        // 000000023B64: D1D30330 04C3FBFC
	v_max3_f32 v48, |v254|, |v255|, v48                        // 000000023B6C: D1D30330 04C3FFFE
	ds_write_b32 v8, v48 offset:20992                          // 000000023B74: D81A5200 00003008
	v_sub_f32_e32 v51, v13, v15                                // 000000023B7C: 04661F0D
	v_cndmask_b32_e64 v51, v51, 0, s[40:41]                    // 000000023B80: D1000033 00A10133
	v_mov_b32_e32 v13, v15                                     // 000000023B88: 7E1A030F
	v_mul_f32_e32 v51, s64, v51                                // 000000023B8C: 0A666640
	v_exp_f32_e32 v51, v51                                     // 000000023B90: 7E664133
	s_waitcnt lgkmcnt(0)                                       // 000000023B94: BF8CC07F
	s_barrier                                                  // 000000023B98: BF8A0000
	ds_read_b32 v64, v7 offset:20992                           // 000000023B9C: D86C5200 40000007
	ds_read_b32 v65, v7 offset:21056                           // 000000023BA4: D86C5240 41000007
	ds_read_b32 v66, v7 offset:21120                           // 000000023BAC: D86C5280 42000007
	ds_read_b32 v67, v7 offset:21184                           // 000000023BB4: D86C52C0 43000007
	ds_read_b32 v68, v7 offset:21248                           // 000000023BBC: D86C5300 44000007
	ds_read_b32 v69, v7 offset:21312                           // 000000023BC4: D86C5340 45000007
	ds_read_b32 v70, v7 offset:21376                           // 000000023BCC: D86C5380 46000007
	ds_read_b32 v71, v7 offset:21440                           // 000000023BD4: D86C53C0 47000007
	ds_read_b32 v72, v7 offset:21504                           // 000000023BDC: D86C5400 48000007
	ds_read_b32 v73, v7 offset:21568                           // 000000023BE4: D86C5440 49000007
	ds_read_b32 v74, v7 offset:21632                           // 000000023BEC: D86C5480 4A000007
	ds_read_b32 v75, v7 offset:21696                           // 000000023BF4: D86C54C0 4B000007
	ds_read_b32 v76, v7 offset:21760                           // 000000023BFC: D86C5500 4C000007
	ds_read_b32 v77, v7 offset:21824                           // 000000023C04: D86C5540 4D000007
	ds_read_b32 v78, v7 offset:21888                           // 000000023C0C: D86C5580 4E000007
	ds_read_b32 v79, v7 offset:21952                           // 000000023C14: D86C55C0 4F000007
	v_mul_f32_e32 v40, v51, v40                                // 000000023C1C: 0A505133
	v_mov_b32_e32 v15, v144                                    // 000000023C20: 7E1E0390
	v_add_f32_e32 v15, v145, v15                               // 000000023C24: 021E1F91
	v_add_f32_e32 v15, v146, v15                               // 000000023C28: 021E1F92
	v_add_f32_e32 v15, v147, v15                               // 000000023C2C: 021E1F93
	v_add_f32_e32 v15, v148, v15                               // 000000023C30: 021E1F94
	v_add_f32_e32 v15, v149, v15                               // 000000023C34: 021E1F95
	v_add_f32_e32 v15, v150, v15                               // 000000023C38: 021E1F96
	v_add_f32_e32 v15, v151, v15                               // 000000023C3C: 021E1F97
	v_add_f32_e32 v15, v152, v15                               // 000000023C40: 021E1F98
	v_add_f32_e32 v15, v153, v15                               // 000000023C44: 021E1F99
	v_add_f32_e32 v15, v154, v15                               // 000000023C48: 021E1F9A
	v_add_f32_e32 v15, v155, v15                               // 000000023C4C: 021E1F9B
	v_add_f32_e32 v15, v156, v15                               // 000000023C50: 021E1F9C
	v_add_f32_e32 v15, v157, v15                               // 000000023C54: 021E1F9D
	v_add_f32_e32 v15, v158, v15                               // 000000023C58: 021E1F9E
	v_add_f32_e32 v15, v159, v15                               // 000000023C5C: 021E1F9F
	v_add_f32_e32 v40, v15, v40                                // 000000023C60: 0250510F
	s_waitcnt lgkmcnt(0)                                       // 000000023C64: BF8CC07F
	v_max3_f32 v48, |v64|, |v65|, v48                          // 000000023C68: D1D30330 04C28340
	v_max3_f32 v48, |v66|, |v67|, v48                          // 000000023C70: D1D30330 04C28742
	v_max3_f32 v48, |v68|, |v69|, v48                          // 000000023C78: D1D30330 04C28B44
	v_max3_f32 v48, |v70|, |v71|, v48                          // 000000023C80: D1D30330 04C28F46
	v_max3_f32 v48, |v72|, |v73|, v48                          // 000000023C88: D1D30330 04C29348
	v_max3_f32 v48, |v74|, |v75|, v48                          // 000000023C90: D1D30330 04C2974A
	v_max3_f32 v48, |v76|, |v77|, v48                          // 000000023C98: D1D30330 04C29B4C
	v_max3_f32 v48, |v78|, |v79|, v48                          // 000000023CA0: D1D30330 04C29F4E
	s_nop 2                                                    // 000000023CA8: BF800002
	v_rcp_f32_e32 v48, v48                                     // 000000023CAC: 7E604530
	s_nop 1                                                    // 000000023CB0: BF800001
	v_mul_f32_e32 v48, 0x42fe0000, v48                         // 000000023CB4: 0A6060FF 42FE0000
	v_mul_f32_e32 v144, v48, v240                              // 000000023CBC: 0B21E130
	v_mul_f32_e32 v145, v48, v241                              // 000000023CC0: 0B23E330
	v_mul_f32_e32 v146, v48, v242                              // 000000023CC4: 0B25E530
	v_mul_f32_e32 v147, v48, v243                              // 000000023CC8: 0B27E730
	v_mul_f32_e32 v148, v48, v244                              // 000000023CCC: 0B29E930
	v_mul_f32_e32 v149, v48, v245                              // 000000023CD0: 0B2BEB30
	v_mul_f32_e32 v150, v48, v246                              // 000000023CD4: 0B2DED30
	v_mul_f32_e32 v151, v48, v247                              // 000000023CD8: 0B2FEF30
	v_mul_f32_e32 v152, v48, v248                              // 000000023CDC: 0B31F130
	v_mul_f32_e32 v153, v48, v249                              // 000000023CE0: 0B33F330
	v_mul_f32_e32 v154, v48, v250                              // 000000023CE4: 0B35F530
	v_mul_f32_e32 v155, v48, v251                              // 000000023CE8: 0B37F730
	v_mul_f32_e32 v156, v48, v252                              // 000000023CEC: 0B39F930
	v_mul_f32_e32 v157, v48, v253                              // 000000023CF0: 0B3BFB30
	v_mul_f32_e32 v158, v48, v254                              // 000000023CF4: 0B3DFD30
	v_mul_f32_e32 v159, v48, v255                              // 000000023CF8: 0B3FFF30
	v_cvt_i32_f32_e32 v144, v144                               // 000000023CFC: 7F201190
	v_cvt_i32_f32_e32 v145, v145                               // 000000023D00: 7F221191
	v_cvt_i32_f32_e32 v146, v146                               // 000000023D04: 7F241192
	v_cvt_i32_f32_e32 v147, v147                               // 000000023D08: 7F261193
	v_cvt_i32_f32_e32 v148, v148                               // 000000023D0C: 7F281194
	v_cvt_i32_f32_e32 v149, v149                               // 000000023D10: 7F2A1195
	v_cvt_i32_f32_e32 v150, v150                               // 000000023D14: 7F2C1196
	v_cvt_i32_f32_e32 v151, v151                               // 000000023D18: 7F2E1197
	v_cvt_i32_f32_e32 v152, v152                               // 000000023D1C: 7F301198
	v_cvt_i32_f32_e32 v153, v153                               // 000000023D20: 7F321199
	v_cvt_i32_f32_e32 v154, v154                               // 000000023D24: 7F34119A
	v_cvt_i32_f32_e32 v155, v155                               // 000000023D28: 7F36119B
	v_cvt_i32_f32_e32 v156, v156                               // 000000023D2C: 7F38119C
	v_cvt_i32_f32_e32 v157, v157                               // 000000023D30: 7F3A119D
	v_cvt_i32_f32_e32 v158, v158                               // 000000023D34: 7F3C119E
	v_cvt_i32_f32_e32 v159, v159                               // 000000023D38: 7F3E119F
	v_perm_b32 v144, v145, v144, s53                           // 000000023D3C: D1ED0090 00D72191
	v_perm_b32 v144, v146, v144, s54                           // 000000023D44: D1ED0090 00DB2192
	v_perm_b32 v144, v147, v144, s55                           // 000000023D4C: D1ED0090 00DF2193
	v_perm_b32 v145, v149, v148, s53                           // 000000023D54: D1ED0091 00D72995
	v_perm_b32 v145, v150, v145, s54                           // 000000023D5C: D1ED0091 00DB2396
	v_perm_b32 v145, v151, v145, s55                           // 000000023D64: D1ED0091 00DF2397
	v_perm_b32 v146, v153, v152, s53                           // 000000023D6C: D1ED0092 00D73199
	v_perm_b32 v146, v154, v146, s54                           // 000000023D74: D1ED0092 00DB259A
	v_perm_b32 v146, v155, v146, s55                           // 000000023D7C: D1ED0092 00DF259B
	v_perm_b32 v147, v157, v156, s53                           // 000000023D84: D1ED0093 00D7399D
	v_perm_b32 v147, v158, v147, s54                           // 000000023D8C: D1ED0093 00DB279E
	v_perm_b32 v147, v159, v147, s55                           // 000000023D94: D1ED0093 00DF279F
	ds_write_b32 v10, v144 offset:33280                        // 000000023D9C: D81A8200 0000900A
	ds_write_b32 v10, v145 offset:34304                        // 000000023DA4: D81A8600 0000910A
	ds_write_b32 v10, v146 offset:35328                        // 000000023DAC: D81A8A00 0000920A
	ds_write_b32 v10, v147 offset:36352                        // 000000023DB4: D81A8E00 0000930A
	v_add_f32_e32 v224, v224, v192                             // 000000023DBC: 03C181E0
	v_add_f32_e32 v225, v225, v193                             // 000000023DC0: 03C383E1
	v_add_f32_e32 v226, v226, v194                             // 000000023DC4: 03C585E2
	v_add_f32_e32 v227, v227, v195                             // 000000023DC8: 03C787E3
	v_add_f32_e32 v228, v228, v196                             // 000000023DCC: 03C989E4
	v_add_f32_e32 v229, v229, v197                             // 000000023DD0: 03CB8BE5
	v_add_f32_e32 v230, v230, v198                             // 000000023DD4: 03CD8DE6
	v_add_f32_e32 v231, v231, v199                             // 000000023DD8: 03CF8FE7
	v_rcp_f32_e32 v46, v48                                     // 000000023DDC: 7E5C4530
	s_waitcnt lgkmcnt(0)                                       // 000000023DE0: BF8CC07F
	s_barrier                                                  // 000000023DE4: BF8A0000
	ds_read_b64 v[144:145], v9 offset:33280                    // 000000023DE8: D8EC8200 90000009
	ds_read_b64 v[146:147], v9 offset:33408                    // 000000023DF0: D8EC8280 92000009
	ds_read_b64 v[148:149], v9 offset:34304                    // 000000023DF8: D8EC8600 94000009
	ds_read_b64 v[150:151], v9 offset:34432                    // 000000023E00: D8EC8680 96000009
	ds_read_b64 v[152:153], v9 offset:35328                    // 000000023E08: D8EC8A00 98000009
	ds_read_b64 v[154:155], v9 offset:35456                    // 000000023E10: D8EC8A80 9A000009
	ds_read_b64 v[156:157], v9 offset:36352                    // 000000023E18: D8EC8E00 9C000009
	ds_read_b64 v[158:159], v9 offset:36480                    // 000000023E20: D8EC8E80 9E000009
	v_mov_b32_dpp v64, v43 row_shr:4 row_mask:0xf bank_mask:0xf// 000000023E28: 7E8002FA FF01142B
	v_mov_b32_dpp v65, v43 row_shl:4 row_mask:0xf bank_mask:0xf// 000000023E30: 7E8202FA FF01042B
	v_cndmask_b32_e64 v248, v43, v64, s[44:45]                 // 000000023E38: D10000F8 00B2812B
	v_cndmask_b32_e64 v249, v65, v43, s[44:45]                 // 000000023E40: D10000F9 00B25741
	v_mov_b32_dpp v64, v248 row_shr:8 row_mask:0xf bank_mask:0xf// 000000023E48: 7E8002FA FF0118F8
	v_mov_b32_dpp v65, v248 row_shl:8 row_mask:0xf bank_mask:0xf// 000000023E50: 7E8202FA FF0108F8
	v_mov_b32_dpp v66, v249 row_shr:8 row_mask:0xf bank_mask:0xf// 000000023E58: 7E8402FA FF0118F9
	v_mov_b32_dpp v67, v249 row_shl:8 row_mask:0xf bank_mask:0xf// 000000023E60: 7E8602FA FF0108F9
	v_mov_b32_e32 v68, v248                                    // 000000023E68: 7E8803F8
	v_mov_b32_e32 v69, v249                                    // 000000023E6C: 7E8A03F9
	v_cndmask_b32_e64 v248, v68, v64, s[42:43]                 // 000000023E70: D10000F8 00AA8144
	v_cndmask_b32_e64 v250, v68, v65, s[78:79]                 // 000000023E78: D10000FA 013A8344
	v_cndmask_b32_e64 v249, v69, v66, s[42:43]                 // 000000023E80: D10000F9 00AA8545
	v_cndmask_b32_e64 v251, v69, v67, s[78:79]                 // 000000023E88: D10000FB 013A8745
	v_mov_b32_dpp v64, v58 row_shr:4 row_mask:0xf bank_mask:0xf// 000000023E90: 7E8002FA FF01143A
	v_mov_b32_dpp v65, v58 row_shl:4 row_mask:0xf bank_mask:0xf// 000000023E98: 7E8202FA FF01043A
	v_cndmask_b32_e64 v252, v58, v64, s[44:45]                 // 000000023EA0: D10000FC 00B2813A
	v_cndmask_b32_e64 v253, v65, v58, s[44:45]                 // 000000023EA8: D10000FD 00B27541
	v_mov_b32_dpp v64, v252 row_shr:8 row_mask:0xf bank_mask:0xf// 000000023EB0: 7E8002FA FF0118FC
	v_mov_b32_dpp v65, v252 row_shl:8 row_mask:0xf bank_mask:0xf// 000000023EB8: 7E8202FA FF0108FC
	v_mov_b32_dpp v66, v253 row_shr:8 row_mask:0xf bank_mask:0xf// 000000023EC0: 7E8402FA FF0118FD
	v_mov_b32_dpp v67, v253 row_shl:8 row_mask:0xf bank_mask:0xf// 000000023EC8: 7E8602FA FF0108FD
	v_mov_b32_e32 v68, v252                                    // 000000023ED0: 7E8803FC
	v_mov_b32_e32 v69, v253                                    // 000000023ED4: 7E8A03FD
	v_cndmask_b32_e64 v252, v68, v64, s[42:43]                 // 000000023ED8: D10000FC 00AA8144
	v_cndmask_b32_e64 v254, v68, v65, s[78:79]                 // 000000023EE0: D10000FE 013A8344
	v_cndmask_b32_e64 v253, v69, v66, s[42:43]                 // 000000023EE8: D10000FD 00AA8545
	v_cndmask_b32_e64 v255, v69, v67, s[78:79]                 // 000000023EF0: D10000FF 013A8745
	v_cvt_f32_i32_e32 v160, v160                               // 000000023EF8: 7F400BA0
	v_cvt_f32_i32_e32 v161, v161                               // 000000023EFC: 7F420BA1
	v_cvt_f32_i32_e32 v162, v162                               // 000000023F00: 7F440BA2
	v_cvt_f32_i32_e32 v163, v163                               // 000000023F04: 7F460BA3
	v_cvt_f32_i32_e32 v164, v164                               // 000000023F08: 7F480BA4
	v_cvt_f32_i32_e32 v165, v165                               // 000000023F0C: 7F4A0BA5
	v_cvt_f32_i32_e32 v166, v166                               // 000000023F10: 7F4C0BA6
	v_cvt_f32_i32_e32 v167, v167                               // 000000023F14: 7F4E0BA7
	v_cvt_f32_i32_e32 v168, v168                               // 000000023F18: 7F500BA8
	v_cvt_f32_i32_e32 v169, v169                               // 000000023F1C: 7F520BA9
	v_cvt_f32_i32_e32 v170, v170                               // 000000023F20: 7F540BAA
	v_cvt_f32_i32_e32 v171, v171                               // 000000023F24: 7F560BAB
	v_cvt_f32_i32_e32 v172, v172                               // 000000023F28: 7F580BAC
	v_cvt_f32_i32_e32 v173, v173                               // 000000023F2C: 7F5A0BAD
	v_cvt_f32_i32_e32 v174, v174                               // 000000023F30: 7F5C0BAE
	v_cvt_f32_i32_e32 v175, v175                               // 000000023F34: 7F5E0BAF
	v_mul_f32_e32 v160, v21, v160                              // 000000023F38: 0B414115
	v_mul_f32_e32 v161, v21, v161                              // 000000023F3C: 0B434315
	v_mul_f32_e32 v162, v21, v162                              // 000000023F40: 0B454515
	v_mul_f32_e32 v163, v21, v163                              // 000000023F44: 0B474715
	v_mul_f32_e32 v164, v21, v164                              // 000000023F48: 0B494915
	v_mul_f32_e32 v165, v21, v165                              // 000000023F4C: 0B4B4B15
	v_mul_f32_e32 v166, v21, v166                              // 000000023F50: 0B4D4D15
	v_mul_f32_e32 v167, v21, v167                              // 000000023F54: 0B4F4F15
	v_mul_f32_e32 v168, v21, v168                              // 000000023F58: 0B515115
	v_mul_f32_e32 v169, v21, v169                              // 000000023F5C: 0B535315
	v_mul_f32_e32 v170, v21, v170                              // 000000023F60: 0B555515
	v_mul_f32_e32 v171, v21, v171                              // 000000023F64: 0B575715
	v_mul_f32_e32 v172, v21, v172                              // 000000023F68: 0B595915
	v_mul_f32_e32 v173, v21, v173                              // 000000023F6C: 0B5B5B15
	v_mul_f32_e32 v174, v21, v174                              // 000000023F70: 0B5D5D15
	v_mul_f32_e32 v175, v21, v175                              // 000000023F74: 0B5F5F15
	v_mul_f32_dpp v160, v248, v160 quad_perm:[0,0,0,0] row_mask:0xf bank_mask:0xf// 000000023F78: 0B4140FA FF0000F8
	v_mul_f32_dpp v161, v248, v161 quad_perm:[1,1,1,1] row_mask:0xf bank_mask:0xf// 000000023F80: 0B4342FA FF0055F8
	v_mul_f32_dpp v162, v248, v162 quad_perm:[2,2,2,2] row_mask:0xf bank_mask:0xf// 000000023F88: 0B4544FA FF00AAF8
	v_mul_f32_dpp v163, v248, v163 quad_perm:[3,3,3,3] row_mask:0xf bank_mask:0xf// 000000023F90: 0B4746FA FF00FFF8
	v_mul_f32_dpp v164, v249, v164 quad_perm:[0,0,0,0] row_mask:0xf bank_mask:0xf// 000000023F98: 0B4948FA FF0000F9
	v_mul_f32_dpp v165, v249, v165 quad_perm:[1,1,1,1] row_mask:0xf bank_mask:0xf// 000000023FA0: 0B4B4AFA FF0055F9
	v_mul_f32_dpp v166, v249, v166 quad_perm:[2,2,2,2] row_mask:0xf bank_mask:0xf// 000000023FA8: 0B4D4CFA FF00AAF9
	v_mul_f32_dpp v167, v249, v167 quad_perm:[3,3,3,3] row_mask:0xf bank_mask:0xf// 000000023FB0: 0B4F4EFA FF00FFF9
	v_mul_f32_dpp v168, v250, v168 quad_perm:[0,0,0,0] row_mask:0xf bank_mask:0xf// 000000023FB8: 0B5150FA FF0000FA
	v_mul_f32_dpp v169, v250, v169 quad_perm:[1,1,1,1] row_mask:0xf bank_mask:0xf// 000000023FC0: 0B5352FA FF0055FA
	v_mul_f32_dpp v170, v250, v170 quad_perm:[2,2,2,2] row_mask:0xf bank_mask:0xf// 000000023FC8: 0B5554FA FF00AAFA
	v_mul_f32_dpp v171, v250, v171 quad_perm:[3,3,3,3] row_mask:0xf bank_mask:0xf// 000000023FD0: 0B5756FA FF00FFFA
	v_mul_f32_dpp v172, v251, v172 quad_perm:[0,0,0,0] row_mask:0xf bank_mask:0xf// 000000023FD8: 0B5958FA FF0000FB
	v_mul_f32_dpp v173, v251, v173 quad_perm:[1,1,1,1] row_mask:0xf bank_mask:0xf// 000000023FE0: 0B5B5AFA FF0055FB
	v_mul_f32_dpp v174, v251, v174 quad_perm:[2,2,2,2] row_mask:0xf bank_mask:0xf// 000000023FE8: 0B5D5CFA FF00AAFB
	v_mul_f32_dpp v175, v251, v175 quad_perm:[3,3,3,3] row_mask:0xf bank_mask:0xf// 000000023FF0: 0B5F5EFA FF00FFFB
	v_mov_b32_e32 v48, v160                                    // 000000023FF8: 7E6003A0
	v_max3_f32 v48, v160, v161, v48                            // 000000023FFC: D1D30030 04C343A0
	v_max3_f32 v48, v162, v163, v48                            // 000000024004: D1D30030 04C347A2
	v_max3_f32 v48, v164, v165, v48                            // 00000002400C: D1D30030 04C34BA4
	v_max3_f32 v48, v166, v167, v48                            // 000000024014: D1D30030 04C34FA6
	v_max3_f32 v48, v168, v169, v48                            // 00000002401C: D1D30030 04C353A8
	v_max3_f32 v48, v170, v171, v48                            // 000000024024: D1D30030 04C357AA
	v_max3_f32 v48, v172, v173, v48                            // 00000002402C: D1D30030 04C35BAC
	v_max3_f32 v48, v174, v175, v48                            // 000000024034: D1D30030 04C35FAE
	ds_write_b32 v8, v48 offset:16896                          // 00000002403C: D81A4200 00003008
	v_mul_f32_e32 v232, v52, v232                              // 000000024044: 0BD1D134
	v_mul_f32_e32 v233, v52, v233                              // 000000024048: 0BD3D334
	v_mul_f32_e32 v234, v52, v234                              // 00000002404C: 0BD5D534
	v_mul_f32_e32 v235, v52, v235                              // 000000024050: 0BD7D734
	v_mul_f32_e32 v236, v52, v236                              // 000000024054: 0BD9D934
	v_mul_f32_e32 v237, v52, v237                              // 000000024058: 0BDBDB34
	v_mul_f32_e32 v238, v52, v238                              // 00000002405C: 0BDDDD34
	v_mul_f32_e32 v239, v52, v239                              // 000000024060: 0BDFDF34
	s_waitcnt lgkmcnt(0)                                       // 000000024064: BF8CC07F
	s_barrier                                                  // 000000024068: BF8A0000
	ds_read_b32 v64, v7 offset:16896                           // 00000002406C: D86C4200 40000007
	ds_read_b32 v65, v7 offset:16960                           // 000000024074: D86C4240 41000007
	ds_read_b32 v66, v7 offset:17024                           // 00000002407C: D86C4280 42000007
	ds_read_b32 v67, v7 offset:17088                           // 000000024084: D86C42C0 43000007
	ds_read_b32 v68, v7 offset:17152                           // 00000002408C: D86C4300 44000007
	ds_read_b32 v69, v7 offset:17216                           // 000000024094: D86C4340 45000007
	ds_read_b32 v70, v7 offset:17280                           // 00000002409C: D86C4380 46000007
	ds_read_b32 v71, v7 offset:17344                           // 0000000240A4: D86C43C0 47000007
	ds_read_b32 v72, v7 offset:17408                           // 0000000240AC: D86C4400 48000007
	ds_read_b32 v73, v7 offset:17472                           // 0000000240B4: D86C4440 49000007
	ds_read_b32 v74, v7 offset:17536                           // 0000000240BC: D86C4480 4A000007
	ds_read_b32 v75, v7 offset:17600                           // 0000000240C4: D86C44C0 4B000007
	ds_read_b32 v76, v7 offset:17664                           // 0000000240CC: D86C4500 4C000007
	ds_read_b32 v77, v7 offset:17728                           // 0000000240D4: D86C4540 4D000007
	ds_read_b32 v78, v7 offset:17792                           // 0000000240DC: D86C4580 4E000007
	ds_read_b32 v79, v7 offset:17856                           // 0000000240E4: D86C45C0 4F000007
	v_cvt_f32_i32_e32 v200, v200                               // 0000000240EC: 7F900BC8
	v_cvt_f32_i32_e32 v201, v201                               // 0000000240F0: 7F920BC9
	v_cvt_f32_i32_e32 v202, v202                               // 0000000240F4: 7F940BCA
	v_cvt_f32_i32_e32 v203, v203                               // 0000000240F8: 7F960BCB
	v_cvt_f32_i32_e32 v204, v204                               // 0000000240FC: 7F980BCC
	v_cvt_f32_i32_e32 v205, v205                               // 000000024100: 7F9A0BCD
	v_cvt_f32_i32_e32 v206, v206                               // 000000024104: 7F9C0BCE
	v_cvt_f32_i32_e32 v207, v207                               // 000000024108: 7F9E0BCF
	v_mul_f32_e32 v200, v47, v200                              // 00000002410C: 0B91912F
	v_mul_f32_e32 v201, v47, v201                              // 000000024110: 0B93932F
	v_mul_f32_e32 v202, v47, v202                              // 000000024114: 0B95952F
	v_mul_f32_e32 v203, v47, v203                              // 000000024118: 0B97972F
	v_mul_f32_e32 v204, v47, v204                              // 00000002411C: 0B99992F
	v_mul_f32_e32 v205, v47, v205                              // 000000024120: 0B9B9B2F
	v_mul_f32_e32 v206, v47, v206                              // 000000024124: 0B9D9D2F
	v_mul_f32_e32 v207, v47, v207                              // 000000024128: 0B9F9F2F
	s_waitcnt lgkmcnt(0)                                       // 00000002412C: BF8CC07F
	v_max3_f32 v48, v64, v65, v48                              // 000000024130: D1D30030 04C28340
	v_max3_f32 v48, v66, v67, v48                              // 000000024138: D1D30030 04C28742
	v_max3_f32 v48, v68, v69, v48                              // 000000024140: D1D30030 04C28B44
	v_max3_f32 v48, v70, v71, v48                              // 000000024148: D1D30030 04C28F46
	v_max3_f32 v48, v72, v73, v48                              // 000000024150: D1D30030 04C29348
	v_max3_f32 v48, v74, v75, v48                              // 000000024158: D1D30030 04C2974A
	v_max3_f32 v48, v76, v77, v48                              // 000000024160: D1D30030 04C29B4C
	v_max3_f32 v48, v78, v79, v48                              // 000000024168: D1D30030 04C29F4E
	v_mov_b32_e32 v64, 0xff800000                              // 000000024170: 7E8002FF FF800000
	v_cmp_eq_u32_e64 s[40:41], v64, v14                        // 000000024178: D0CA0028 00021D40
	s_nop 1                                                    // 000000024180: BF800001
	v_max_f32_e32 v15, v48, v14                                // 000000024184: 161E1D30
	v_mul_f32_e32 v53, s64, v15                                // 000000024188: 0A6A1E40
	v_fma_f32 v160, v160, s64, -v53                            // 00000002418C: D1CB00A0 84D481A0
	v_fma_f32 v161, v161, s64, -v53                            // 000000024194: D1CB00A1 84D481A1
	v_fma_f32 v162, v162, s64, -v53                            // 00000002419C: D1CB00A2 84D481A2
	v_fma_f32 v163, v163, s64, -v53                            // 0000000241A4: D1CB00A3 84D481A3
	v_fma_f32 v164, v164, s64, -v53                            // 0000000241AC: D1CB00A4 84D481A4
	v_fma_f32 v165, v165, s64, -v53                            // 0000000241B4: D1CB00A5 84D481A5
	v_fma_f32 v166, v166, s64, -v53                            // 0000000241BC: D1CB00A6 84D481A6
	v_fma_f32 v167, v167, s64, -v53                            // 0000000241C4: D1CB00A7 84D481A7
	v_fma_f32 v168, v168, s64, -v53                            // 0000000241CC: D1CB00A8 84D481A8
	v_fma_f32 v169, v169, s64, -v53                            // 0000000241D4: D1CB00A9 84D481A9
	v_fma_f32 v170, v170, s64, -v53                            // 0000000241DC: D1CB00AA 84D481AA
	v_fma_f32 v171, v171, s64, -v53                            // 0000000241E4: D1CB00AB 84D481AB
	v_fma_f32 v172, v172, s64, -v53                            // 0000000241EC: D1CB00AC 84D481AC
	v_fma_f32 v173, v173, s64, -v53                            // 0000000241F4: D1CB00AD 84D481AD
	v_fma_f32 v174, v174, s64, -v53                            // 0000000241FC: D1CB00AE 84D481AE
	v_fma_f32 v175, v175, s64, -v53                            // 000000024204: D1CB00AF 84D481AF
	v_exp_f32_e32 v160, v160                                   // 00000002420C: 7F4041A0
	v_exp_f32_e32 v161, v161                                   // 000000024210: 7F4241A1
	v_exp_f32_e32 v162, v162                                   // 000000024214: 7F4441A2
	v_exp_f32_e32 v163, v163                                   // 000000024218: 7F4641A3
	v_exp_f32_e32 v164, v164                                   // 00000002421C: 7F4841A4
	v_exp_f32_e32 v165, v165                                   // 000000024220: 7F4A41A5
	v_exp_f32_e32 v166, v166                                   // 000000024224: 7F4C41A6
	v_exp_f32_e32 v167, v167                                   // 000000024228: 7F4E41A7
	v_exp_f32_e32 v168, v168                                   // 00000002422C: 7F5041A8
	v_exp_f32_e32 v169, v169                                   // 000000024230: 7F5241A9
	v_exp_f32_e32 v170, v170                                   // 000000024234: 7F5441AA
	v_exp_f32_e32 v171, v171                                   // 000000024238: 7F5641AB
	v_exp_f32_e32 v172, v172                                   // 00000002423C: 7F5841AC
	v_exp_f32_e32 v173, v173                                   // 000000024240: 7F5A41AD
	v_exp_f32_e32 v174, v174                                   // 000000024244: 7F5C41AE
	v_exp_f32_e32 v175, v175                                   // 000000024248: 7F5E41AF
	v_mul_f32_dpp v240, v252, v160 quad_perm:[0,0,0,0] row_mask:0xf bank_mask:0xf// 00000002424C: 0BE140FA FF0000FC
	v_mul_f32_dpp v241, v252, v161 quad_perm:[1,1,1,1] row_mask:0xf bank_mask:0xf// 000000024254: 0BE342FA FF0055FC
	v_mul_f32_dpp v242, v252, v162 quad_perm:[2,2,2,2] row_mask:0xf bank_mask:0xf// 00000002425C: 0BE544FA FF00AAFC
	v_mul_f32_dpp v243, v252, v163 quad_perm:[3,3,3,3] row_mask:0xf bank_mask:0xf// 000000024264: 0BE746FA FF00FFFC
	v_mul_f32_dpp v244, v253, v164 quad_perm:[0,0,0,0] row_mask:0xf bank_mask:0xf// 00000002426C: 0BE948FA FF0000FD
	v_mul_f32_dpp v245, v253, v165 quad_perm:[1,1,1,1] row_mask:0xf bank_mask:0xf// 000000024274: 0BEB4AFA FF0055FD
	v_mul_f32_dpp v246, v253, v166 quad_perm:[2,2,2,2] row_mask:0xf bank_mask:0xf// 00000002427C: 0BED4CFA FF00AAFD
	v_mul_f32_dpp v247, v253, v167 quad_perm:[3,3,3,3] row_mask:0xf bank_mask:0xf// 000000024284: 0BEF4EFA FF00FFFD
	v_mul_f32_dpp v248, v254, v168 quad_perm:[0,0,0,0] row_mask:0xf bank_mask:0xf// 00000002428C: 0BF150FA FF0000FE
	v_mul_f32_dpp v249, v254, v169 quad_perm:[1,1,1,1] row_mask:0xf bank_mask:0xf// 000000024294: 0BF352FA FF0055FE
	v_mul_f32_dpp v250, v254, v170 quad_perm:[2,2,2,2] row_mask:0xf bank_mask:0xf// 00000002429C: 0BF554FA FF00AAFE
	v_mul_f32_dpp v251, v254, v171 quad_perm:[3,3,3,3] row_mask:0xf bank_mask:0xf// 0000000242A4: 0BF756FA FF00FFFE
	v_mul_f32_dpp v252, v255, v172 quad_perm:[0,0,0,0] row_mask:0xf bank_mask:0xf// 0000000242AC: 0BF958FA FF0000FF
	v_mul_f32_dpp v253, v255, v173 quad_perm:[1,1,1,1] row_mask:0xf bank_mask:0xf// 0000000242B4: 0BFB5AFA FF0055FF
	v_mul_f32_dpp v254, v255, v174 quad_perm:[2,2,2,2] row_mask:0xf bank_mask:0xf// 0000000242BC: 0BFD5CFA FF00AAFF
	v_mul_f32_dpp v255, v255, v175 quad_perm:[3,3,3,3] row_mask:0xf bank_mask:0xf// 0000000242C4: 0BFF5EFA FF00FFFF
	v_mov_b32_e32 v48, 0x358637bd                              // 0000000242CC: 7E6002FF 358637BD
	v_max3_f32 v48, |v240|, |v241|, v48                        // 0000000242D4: D1D30330 04C3E3F0
	v_max3_f32 v48, |v242|, |v243|, v48                        // 0000000242DC: D1D30330 04C3E7F2
	v_max3_f32 v48, |v244|, |v245|, v48                        // 0000000242E4: D1D30330 04C3EBF4
	v_max3_f32 v48, |v246|, |v247|, v48                        // 0000000242EC: D1D30330 04C3EFF6
	v_max3_f32 v48, |v248|, |v249|, v48                        // 0000000242F4: D1D30330 04C3F3F8
	v_max3_f32 v48, |v250|, |v251|, v48                        // 0000000242FC: D1D30330 04C3F7FA
	v_max3_f32 v48, |v252|, |v253|, v48                        // 000000024304: D1D30330 04C3FBFC
	v_max3_f32 v48, |v254|, |v255|, v48                        // 00000002430C: D1D30330 04C3FFFE
	ds_write_b32 v8, v48 offset:20992                          // 000000024314: D81A5200 00003008
	v_sub_f32_e32 v52, v14, v15                                // 00000002431C: 04681F0E
	v_cndmask_b32_e64 v52, v52, 0, s[40:41]                    // 000000024320: D1000034 00A10134
	v_mov_b32_e32 v14, v15                                     // 000000024328: 7E1C030F
	v_mul_f32_e32 v52, s64, v52                                // 00000002432C: 0A686840
	v_exp_f32_e32 v52, v52                                     // 000000024330: 7E684134
	s_waitcnt lgkmcnt(0)                                       // 000000024334: BF8CC07F
	s_barrier                                                  // 000000024338: BF8A0000
	ds_read_b32 v64, v7 offset:20992                           // 00000002433C: D86C5200 40000007
	ds_read_b32 v65, v7 offset:21056                           // 000000024344: D86C5240 41000007
	ds_read_b32 v66, v7 offset:21120                           // 00000002434C: D86C5280 42000007
	ds_read_b32 v67, v7 offset:21184                           // 000000024354: D86C52C0 43000007
	ds_read_b32 v68, v7 offset:21248                           // 00000002435C: D86C5300 44000007
	ds_read_b32 v69, v7 offset:21312                           // 000000024364: D86C5340 45000007
	ds_read_b32 v70, v7 offset:21376                           // 00000002436C: D86C5380 46000007
	ds_read_b32 v71, v7 offset:21440                           // 000000024374: D86C53C0 47000007
	ds_read_b32 v72, v7 offset:21504                           // 00000002437C: D86C5400 48000007
	ds_read_b32 v73, v7 offset:21568                           // 000000024384: D86C5440 49000007
	ds_read_b32 v74, v7 offset:21632                           // 00000002438C: D86C5480 4A000007
	ds_read_b32 v75, v7 offset:21696                           // 000000024394: D86C54C0 4B000007
	ds_read_b32 v76, v7 offset:21760                           // 00000002439C: D86C5500 4C000007
	ds_read_b32 v77, v7 offset:21824                           // 0000000243A4: D86C5540 4D000007
	ds_read_b32 v78, v7 offset:21888                           // 0000000243AC: D86C5580 4E000007
	ds_read_b32 v79, v7 offset:21952                           // 0000000243B4: D86C55C0 4F000007
	v_mul_f32_e32 v41, v52, v41                                // 0000000243BC: 0A525334
	v_mov_b32_e32 v15, v160                                    // 0000000243C0: 7E1E03A0
	v_add_f32_e32 v15, v161, v15                               // 0000000243C4: 021E1FA1
	v_add_f32_e32 v15, v162, v15                               // 0000000243C8: 021E1FA2
	v_add_f32_e32 v15, v163, v15                               // 0000000243CC: 021E1FA3
	v_add_f32_e32 v15, v164, v15                               // 0000000243D0: 021E1FA4
	v_add_f32_e32 v15, v165, v15                               // 0000000243D4: 021E1FA5
	v_add_f32_e32 v15, v166, v15                               // 0000000243D8: 021E1FA6
	v_add_f32_e32 v15, v167, v15                               // 0000000243DC: 021E1FA7
	v_add_f32_e32 v15, v168, v15                               // 0000000243E0: 021E1FA8
	v_add_f32_e32 v15, v169, v15                               // 0000000243E4: 021E1FA9
	v_add_f32_e32 v15, v170, v15                               // 0000000243E8: 021E1FAA
	v_add_f32_e32 v15, v171, v15                               // 0000000243EC: 021E1FAB
	v_add_f32_e32 v15, v172, v15                               // 0000000243F0: 021E1FAC
	v_add_f32_e32 v15, v173, v15                               // 0000000243F4: 021E1FAD
	v_add_f32_e32 v15, v174, v15                               // 0000000243F8: 021E1FAE
	v_add_f32_e32 v15, v175, v15                               // 0000000243FC: 021E1FAF
	v_add_f32_e32 v41, v15, v41                                // 000000024400: 0252530F
	s_waitcnt lgkmcnt(0)                                       // 000000024404: BF8CC07F
	v_max3_f32 v48, |v64|, |v65|, v48                          // 000000024408: D1D30330 04C28340
	v_max3_f32 v48, |v66|, |v67|, v48                          // 000000024410: D1D30330 04C28742
	v_max3_f32 v48, |v68|, |v69|, v48                          // 000000024418: D1D30330 04C28B44
	v_max3_f32 v48, |v70|, |v71|, v48                          // 000000024420: D1D30330 04C28F46
	v_max3_f32 v48, |v72|, |v73|, v48                          // 000000024428: D1D30330 04C29348
	v_max3_f32 v48, |v74|, |v75|, v48                          // 000000024430: D1D30330 04C2974A
	v_max3_f32 v48, |v76|, |v77|, v48                          // 000000024438: D1D30330 04C29B4C
	v_max3_f32 v48, |v78|, |v79|, v48                          // 000000024440: D1D30330 04C29F4E
	s_nop 2                                                    // 000000024448: BF800002
	v_rcp_f32_e32 v48, v48                                     // 00000002444C: 7E604530
	s_nop 1                                                    // 000000024450: BF800001
	v_mul_f32_e32 v48, 0x42fe0000, v48                         // 000000024454: 0A6060FF 42FE0000
	v_mul_f32_e32 v160, v48, v240                              // 00000002445C: 0B41E130
	v_mul_f32_e32 v161, v48, v241                              // 000000024460: 0B43E330
	v_mul_f32_e32 v162, v48, v242                              // 000000024464: 0B45E530
	v_mul_f32_e32 v163, v48, v243                              // 000000024468: 0B47E730
	v_mul_f32_e32 v164, v48, v244                              // 00000002446C: 0B49E930
	v_mul_f32_e32 v165, v48, v245                              // 000000024470: 0B4BEB30
	v_mul_f32_e32 v166, v48, v246                              // 000000024474: 0B4DED30
	v_mul_f32_e32 v167, v48, v247                              // 000000024478: 0B4FEF30
	v_mul_f32_e32 v168, v48, v248                              // 00000002447C: 0B51F130
	v_mul_f32_e32 v169, v48, v249                              // 000000024480: 0B53F330
	v_mul_f32_e32 v170, v48, v250                              // 000000024484: 0B55F530
	v_mul_f32_e32 v171, v48, v251                              // 000000024488: 0B57F730
	v_mul_f32_e32 v172, v48, v252                              // 00000002448C: 0B59F930
	v_mul_f32_e32 v173, v48, v253                              // 000000024490: 0B5BFB30
	v_mul_f32_e32 v174, v48, v254                              // 000000024494: 0B5DFD30
	v_mul_f32_e32 v175, v48, v255                              // 000000024498: 0B5FFF30
	v_cvt_i32_f32_e32 v160, v160                               // 00000002449C: 7F4011A0
	v_cvt_i32_f32_e32 v161, v161                               // 0000000244A0: 7F4211A1
	v_cvt_i32_f32_e32 v162, v162                               // 0000000244A4: 7F4411A2
	v_cvt_i32_f32_e32 v163, v163                               // 0000000244A8: 7F4611A3
	v_cvt_i32_f32_e32 v164, v164                               // 0000000244AC: 7F4811A4
	v_cvt_i32_f32_e32 v165, v165                               // 0000000244B0: 7F4A11A5
	v_cvt_i32_f32_e32 v166, v166                               // 0000000244B4: 7F4C11A6
	v_cvt_i32_f32_e32 v167, v167                               // 0000000244B8: 7F4E11A7
	v_cvt_i32_f32_e32 v168, v168                               // 0000000244BC: 7F5011A8
	v_cvt_i32_f32_e32 v169, v169                               // 0000000244C0: 7F5211A9
	v_cvt_i32_f32_e32 v170, v170                               // 0000000244C4: 7F5411AA
	v_cvt_i32_f32_e32 v171, v171                               // 0000000244C8: 7F5611AB
	v_cvt_i32_f32_e32 v172, v172                               // 0000000244CC: 7F5811AC
	v_cvt_i32_f32_e32 v173, v173                               // 0000000244D0: 7F5A11AD
	v_cvt_i32_f32_e32 v174, v174                               // 0000000244D4: 7F5C11AE
	v_cvt_i32_f32_e32 v175, v175                               // 0000000244D8: 7F5E11AF
	v_perm_b32 v160, v161, v160, s53                           // 0000000244DC: D1ED00A0 00D741A1
	v_perm_b32 v160, v162, v160, s54                           // 0000000244E4: D1ED00A0 00DB41A2
	v_perm_b32 v160, v163, v160, s55                           // 0000000244EC: D1ED00A0 00DF41A3
	v_perm_b32 v161, v165, v164, s53                           // 0000000244F4: D1ED00A1 00D749A5
	v_perm_b32 v161, v166, v161, s54                           // 0000000244FC: D1ED00A1 00DB43A6
	v_perm_b32 v161, v167, v161, s55                           // 000000024504: D1ED00A1 00DF43A7
	v_perm_b32 v162, v169, v168, s53                           // 00000002450C: D1ED00A2 00D751A9
	v_perm_b32 v162, v170, v162, s54                           // 000000024514: D1ED00A2 00DB45AA
	v_perm_b32 v162, v171, v162, s55                           // 00000002451C: D1ED00A2 00DF45AB
	v_perm_b32 v163, v173, v172, s53                           // 000000024524: D1ED00A3 00D759AD
	v_perm_b32 v163, v174, v163, s54                           // 00000002452C: D1ED00A3 00DB47AE
	v_perm_b32 v163, v175, v163, s55                           // 000000024534: D1ED00A3 00DF47AF
	ds_write_b32 v10, v160 offset:37376                        // 00000002453C: D81A9200 0000A00A
	ds_write_b32 v10, v161 offset:38400                        // 000000024544: D81A9600 0000A10A
	ds_write_b32 v10, v162 offset:39424                        // 00000002454C: D81A9A00 0000A20A
	ds_write_b32 v10, v163 offset:40448                        // 000000024554: D81A9E00 0000A30A
	v_add_f32_e32 v232, v232, v200                             // 00000002455C: 03D191E8
	v_add_f32_e32 v233, v233, v201                             // 000000024560: 03D393E9
	v_add_f32_e32 v234, v234, v202                             // 000000024564: 03D595EA
	v_add_f32_e32 v235, v235, v203                             // 000000024568: 03D797EB
	v_add_f32_e32 v236, v236, v204                             // 00000002456C: 03D999EC
	v_add_f32_e32 v237, v237, v205                             // 000000024570: 03DB9BED
	v_add_f32_e32 v238, v238, v206                             // 000000024574: 03DD9DEE
	v_add_f32_e32 v239, v239, v207                             // 000000024578: 03DF9FEF
	v_rcp_f32_e32 v47, v48                                     // 00000002457C: 7E5E4530
	s_waitcnt lgkmcnt(0)                                       // 000000024580: BF8CC07F
	s_barrier                                                  // 000000024584: BF8A0000
	ds_read_b64 v[160:161], v9 offset:37376                    // 000000024588: D8EC9200 A0000009
	ds_read_b64 v[162:163], v9 offset:37504                    // 000000024590: D8EC9280 A2000009
	ds_read_b64 v[164:165], v9 offset:38400                    // 000000024598: D8EC9600 A4000009
	ds_read_b64 v[166:167], v9 offset:38528                    // 0000000245A0: D8EC9680 A6000009
	ds_read_b64 v[168:169], v9 offset:39424                    // 0000000245A8: D8EC9A00 A8000009
	ds_read_b64 v[170:171], v9 offset:39552                    // 0000000245B0: D8EC9A80 AA000009
	ds_read_b64 v[172:173], v9 offset:40448                    // 0000000245B8: D8EC9E00 AC000009
	ds_read_b64 v[174:175], v9 offset:40576                    // 0000000245C0: D8EC9E80 AE000009
	s_waitcnt vmcnt(15)                                        // 0000000245C8: BF8C0F7F
	v_mfma_i32_16x16x32_i8 v[176:179], a[96:97], v[112:113], 0 // 0000000245CC: D3D700B0 0A02E160
	buffer_load_dwordx4 a[80:83], v30, s[20:23], 0 offen offset:1024// 0000000245D4: E05C1400 8085501E
	v_mfma_i32_16x16x32_i8 v[176:179], a[98:99], v[114:115], v[176:179]// 0000000245DC: D3D700B0 0EC2E562
	v_mfma_i32_16x16x32_i8 v[176:179], a[100:101], v[116:117], v[176:179]// 0000000245E4: D3D700B0 0EC2E964
	v_mfma_i32_16x16x32_i8 v[176:179], a[102:103], v[118:119], v[176:179]// 0000000245EC: D3D700B0 0EC2ED66
	v_mfma_i32_16x16x32_i8 v[176:179], a[104:105], v[120:121], v[176:179]// 0000000245F4: D3D700B0 0EC2F168
	buffer_load_dwordx4 a[84:87], v31, s[20:23], 0 offen offset:1024// 0000000245FC: E05C1400 8085541F
	v_mfma_i32_16x16x32_i8 v[176:179], a[106:107], v[122:123], v[176:179]// 000000024604: D3D700B0 0EC2F56A
	v_mfma_i32_16x16x32_i8 v[176:179], a[108:109], v[124:125], v[176:179]// 00000002460C: D3D700B0 0EC2F96C
	v_mfma_i32_16x16x32_i8 v[176:179], a[110:111], v[126:127], v[176:179]// 000000024614: D3D700B0 0EC2FD6E
	v_mfma_i32_16x16x32_i8 v[180:183], a[112:113], v[112:113], 0// 00000002461C: D3D700B4 0A02E170
	buffer_load_dwordx4 a[88:91], v32, s[20:23], 0 offen offset:1024// 000000024624: E05C1400 80855820
	v_mfma_i32_16x16x32_i8 v[180:183], a[114:115], v[114:115], v[180:183]// 00000002462C: D3D700B4 0ED2E572
	v_mfma_i32_16x16x32_i8 v[180:183], a[116:117], v[116:117], v[180:183]// 000000024634: D3D700B4 0ED2E974
	v_mfma_i32_16x16x32_i8 v[180:183], a[118:119], v[118:119], v[180:183]// 00000002463C: D3D700B4 0ED2ED76
	v_mfma_i32_16x16x32_i8 v[180:183], a[120:121], v[120:121], v[180:183]// 000000024644: D3D700B4 0ED2F178
	buffer_load_dwordx4 a[92:95], v33, s[20:23], 0 offen offset:1024// 00000002464C: E05C1400 80855C21
	v_mfma_i32_16x16x32_i8 v[180:183], a[122:123], v[122:123], v[180:183]// 000000024654: D3D700B4 0ED2F57A
	v_mfma_i32_16x16x32_i8 v[180:183], a[124:125], v[124:125], v[180:183]// 00000002465C: D3D700B4 0ED2F97C
	s_lshr_b32 s57, s70, 4                                     // 000000024664: 8F398446
	s_add_u32 s57, 48, s57                                     // 000000024668: 803939B0
	v_mfma_i32_16x16x32_i8 v[180:183], a[126:127], v[126:127], v[180:183]// 00000002466C: D3D700B4 0ED2FD7E
	s_cmp_ge_u32 s57, s73                                      // 000000024674: BF094939
	s_cselect_b32 s56, 0, s56                                  // 000000024678: 85383880
	v_mfma_i32_16x16x32_i8 v[184:187], a[96:97], v[128:129], 0 // 00000002467C: D3D700B8 0A030160
	v_mfma_i32_16x16x32_i8 v[184:187], a[98:99], v[130:131], v[184:187]// 000000024684: D3D700B8 0EE30562
	v_mfma_i32_16x16x32_i8 v[184:187], a[100:101], v[132:133], v[184:187]// 00000002468C: D3D700B8 0EE30964
	v_mfma_i32_16x16x32_i8 v[184:187], a[102:103], v[134:135], v[184:187]// 000000024694: D3D700B8 0EE30D66
	v_mfma_i32_16x16x32_i8 v[184:187], a[104:105], v[136:137], v[184:187]// 00000002469C: D3D700B8 0EE31168
	v_mfma_i32_16x16x32_i8 v[184:187], a[106:107], v[138:139], v[184:187]// 0000000246A4: D3D700B8 0EE3156A
	v_mfma_i32_16x16x32_i8 v[184:187], a[108:109], v[140:141], v[184:187]// 0000000246AC: D3D700B8 0EE3196C
	v_mfma_i32_16x16x32_i8 v[184:187], a[110:111], v[142:143], v[184:187]// 0000000246B4: D3D700B8 0EE31D6E
	v_mfma_i32_16x16x32_i8 v[188:191], a[112:113], v[128:129], 0// 0000000246BC: D3D700BC 0A030170
	v_mfma_i32_16x16x32_i8 v[188:191], a[114:115], v[130:131], v[188:191]// 0000000246C4: D3D700BC 0EF30572
	v_mfma_i32_16x16x32_i8 v[188:191], a[116:117], v[132:133], v[188:191]// 0000000246CC: D3D700BC 0EF30974
	v_mfma_i32_16x16x32_i8 v[188:191], a[118:119], v[134:135], v[188:191]// 0000000246D4: D3D700BC 0EF30D76
	v_mfma_i32_16x16x32_i8 v[188:191], a[120:121], v[136:137], v[188:191]// 0000000246DC: D3D700BC 0EF31178
	v_mfma_i32_16x16x32_i8 v[188:191], a[122:123], v[138:139], v[188:191]// 0000000246E4: D3D700BC 0EF3157A
	v_mfma_i32_16x16x32_i8 v[188:191], a[124:125], v[140:141], v[188:191]// 0000000246EC: D3D700BC 0EF3197C
	v_mfma_i32_16x16x32_i8 v[188:191], a[126:127], v[142:143], v[188:191]// 0000000246F4: D3D700BC 0EF31D7E
	v_mfma_i32_16x16x32_i8 v[192:195], a[96:97], v[144:145], 0 // 0000000246FC: D3D700C0 0A032160
	v_mfma_i32_16x16x32_i8 v[192:195], a[98:99], v[146:147], v[192:195]// 000000024704: D3D700C0 0F032562
	v_mfma_i32_16x16x32_i8 v[192:195], a[100:101], v[148:149], v[192:195]// 00000002470C: D3D700C0 0F032964
	v_mfma_i32_16x16x32_i8 v[192:195], a[102:103], v[150:151], v[192:195]// 000000024714: D3D700C0 0F032D66
	v_mfma_i32_16x16x32_i8 v[192:195], a[104:105], v[152:153], v[192:195]// 00000002471C: D3D700C0 0F033168
	v_mfma_i32_16x16x32_i8 v[192:195], a[106:107], v[154:155], v[192:195]// 000000024724: D3D700C0 0F03356A
	v_mfma_i32_16x16x32_i8 v[192:195], a[108:109], v[156:157], v[192:195]// 00000002472C: D3D700C0 0F03396C
	v_mfma_i32_16x16x32_i8 v[192:195], a[110:111], v[158:159], v[192:195]// 000000024734: D3D700C0 0F033D6E
	v_mfma_i32_16x16x32_i8 v[196:199], a[112:113], v[144:145], 0// 00000002473C: D3D700C4 0A032170
	v_mfma_i32_16x16x32_i8 v[196:199], a[114:115], v[146:147], v[196:199]// 000000024744: D3D700C4 0F132572
	v_mfma_i32_16x16x32_i8 v[196:199], a[116:117], v[148:149], v[196:199]// 00000002474C: D3D700C4 0F132974
	v_mfma_i32_16x16x32_i8 v[196:199], a[118:119], v[150:151], v[196:199]// 000000024754: D3D700C4 0F132D76
	v_mfma_i32_16x16x32_i8 v[196:199], a[120:121], v[152:153], v[196:199]// 00000002475C: D3D700C4 0F133178
	v_mfma_i32_16x16x32_i8 v[196:199], a[122:123], v[154:155], v[196:199]// 000000024764: D3D700C4 0F13357A
	v_mfma_i32_16x16x32_i8 v[196:199], a[124:125], v[156:157], v[196:199]// 00000002476C: D3D700C4 0F13397C
	v_mfma_i32_16x16x32_i8 v[196:199], a[126:127], v[158:159], v[196:199]// 000000024774: D3D700C4 0F133D7E
	v_mfma_i32_16x16x32_i8 v[200:203], a[96:97], v[160:161], 0 // 00000002477C: D3D700C8 0A034160
	v_mfma_i32_16x16x32_i8 v[200:203], a[98:99], v[162:163], v[200:203]// 000000024784: D3D700C8 0F234562
	v_mfma_i32_16x16x32_i8 v[200:203], a[100:101], v[164:165], v[200:203]// 00000002478C: D3D700C8 0F234964
	v_mfma_i32_16x16x32_i8 v[200:203], a[102:103], v[166:167], v[200:203]// 000000024794: D3D700C8 0F234D66
	v_mfma_i32_16x16x32_i8 v[200:203], a[104:105], v[168:169], v[200:203]// 00000002479C: D3D700C8 0F235168
	v_mfma_i32_16x16x32_i8 v[200:203], a[106:107], v[170:171], v[200:203]// 0000000247A4: D3D700C8 0F23556A
	v_mfma_i32_16x16x32_i8 v[200:203], a[108:109], v[172:173], v[200:203]// 0000000247AC: D3D700C8 0F23596C
	v_mfma_i32_16x16x32_i8 v[200:203], a[110:111], v[174:175], v[200:203]// 0000000247B4: D3D700C8 0F235D6E
	v_mfma_i32_16x16x32_i8 v[204:207], a[112:113], v[160:161], 0// 0000000247BC: D3D700CC 0A034170
	v_mfma_i32_16x16x32_i8 v[204:207], a[114:115], v[162:163], v[204:207]// 0000000247C4: D3D700CC 0F334572
	v_mfma_i32_16x16x32_i8 v[204:207], a[116:117], v[164:165], v[204:207]// 0000000247CC: D3D700CC 0F334974
	v_mfma_i32_16x16x32_i8 v[204:207], a[118:119], v[166:167], v[204:207]// 0000000247D4: D3D700CC 0F334D76
	v_mfma_i32_16x16x32_i8 v[204:207], a[120:121], v[168:169], v[204:207]// 0000000247DC: D3D700CC 0F335178
	v_mfma_i32_16x16x32_i8 v[204:207], a[122:123], v[170:171], v[204:207]// 0000000247E4: D3D700CC 0F33557A
	v_mfma_i32_16x16x32_i8 v[204:207], a[124:125], v[172:173], v[204:207]// 0000000247EC: D3D700CC 0F33597C
	v_mfma_i32_16x16x32_i8 v[204:207], a[126:127], v[174:175], v[204:207]// 0000000247F4: D3D700CC 0F335D7E
	v_add_u32_e32 v1, s56, v1                                  // 0000000247FC: 68020238
	s_addk_i32 s70, 0x100                                      // 000000024800: B7460100
	s_cmp_lt_i32 s70, s71                                      // 000000024804: BF044746
	s_cbranch_scc0 label_77A4                                  // 000000024808: BF84EE21
	s_branch label_77A7                                        // 00000002480C: BF82EE23

0000000000024810 <label_8984>:
	s_lshr_b32 s60, s71, 4                                     // 000000024810: 8F3C8447
	s_cmp_eq_i32 s60, s73                                      // 000000024814: BF00493C
	s_cbranch_scc1 label_9E4F                                  // 000000024818: BF8514C8
	s_lshr_b32 s60, s71, 8                                     // 00000002481C: 8F3C8847
	s_and_b32 s60, s60, 1                                      // 000000024820: 863C813C
	s_cmp_eq_i32 s60, 1                                        // 000000024824: BF00813C
	s_cbranch_scc1 label_93ED                                  // 000000024828: BF850A62
	s_waitcnt vmcnt(8) lgkmcnt(0)                              // 00000002482C: BF8C0078
	s_barrier                                                  // 000000024830: BF8A0000
	v_mfma_i32_16x16x32_i8 v[112:115], a[0:1], v[80:81], 0     // 000000024834: D3D70070 0A02A100
	v_mfma_i32_16x16x32_i8 v[112:115], a[2:3], v[82:83], v[112:115]// 00000002483C: D3D70070 0DC2A502
	v_mfma_i32_16x16x32_i8 v[112:115], a[4:5], v[84:85], v[112:115]// 000000024844: D3D70070 0DC2A904
	v_mfma_i32_16x16x32_i8 v[112:115], a[6:7], v[86:87], v[112:115]// 00000002484C: D3D70070 0DC2AD06
	v_mfma_i32_16x16x32_i8 v[116:119], a[8:9], v[80:81], 0     // 000000024854: D3D70074 0A02A108
	v_mfma_i32_16x16x32_i8 v[116:119], a[10:11], v[82:83], v[116:119]// 00000002485C: D3D70074 0DD2A50A
	v_mfma_i32_16x16x32_i8 v[116:119], a[12:13], v[84:85], v[116:119]// 000000024864: D3D70074 0DD2A90C
	v_mfma_i32_16x16x32_i8 v[116:119], a[14:15], v[86:87], v[116:119]// 00000002486C: D3D70074 0DD2AD0E
	v_mfma_i32_16x16x32_i8 v[120:123], a[16:17], v[80:81], 0   // 000000024874: D3D70078 0A02A110
	v_mfma_i32_16x16x32_i8 v[120:123], a[18:19], v[82:83], v[120:123]// 00000002487C: D3D70078 0DE2A512
	v_mfma_i32_16x16x32_i8 v[120:123], a[20:21], v[84:85], v[120:123]// 000000024884: D3D70078 0DE2A914
	v_mfma_i32_16x16x32_i8 v[120:123], a[22:23], v[86:87], v[120:123]// 00000002488C: D3D70078 0DE2AD16
	v_mfma_i32_16x16x32_i8 v[124:127], a[24:25], v[80:81], 0   // 000000024894: D3D7007C 0A02A118
	v_mfma_i32_16x16x32_i8 v[124:127], a[26:27], v[82:83], v[124:127]// 00000002489C: D3D7007C 0DF2A51A
	v_mfma_i32_16x16x32_i8 v[124:127], a[28:29], v[84:85], v[124:127]// 0000000248A4: D3D7007C 0DF2A91C
	v_mfma_i32_16x16x32_i8 v[124:127], a[30:31], v[86:87], v[124:127]// 0000000248AC: D3D7007C 0DF2AD1E
	v_mfma_i32_16x16x32_i8 v[128:131], a[0:1], v[88:89], 0     // 0000000248B4: D3D70080 0A02B100
	v_mfma_i32_16x16x32_i8 v[128:131], a[2:3], v[90:91], v[128:131]// 0000000248BC: D3D70080 0E02B502
	v_mfma_i32_16x16x32_i8 v[128:131], a[4:5], v[92:93], v[128:131]// 0000000248C4: D3D70080 0E02B904
	v_mfma_i32_16x16x32_i8 v[128:131], a[6:7], v[94:95], v[128:131]// 0000000248CC: D3D70080 0E02BD06
	v_mfma_i32_16x16x32_i8 v[132:135], a[8:9], v[88:89], 0     // 0000000248D4: D3D70084 0A02B108
	v_mfma_i32_16x16x32_i8 v[132:135], a[10:11], v[90:91], v[132:135]// 0000000248DC: D3D70084 0E12B50A
	v_mfma_i32_16x16x32_i8 v[132:135], a[12:13], v[92:93], v[132:135]// 0000000248E4: D3D70084 0E12B90C
	v_mfma_i32_16x16x32_i8 v[132:135], a[14:15], v[94:95], v[132:135]// 0000000248EC: D3D70084 0E12BD0E
	v_mfma_i32_16x16x32_i8 v[136:139], a[16:17], v[88:89], 0   // 0000000248F4: D3D70088 0A02B110
	v_mfma_i32_16x16x32_i8 v[136:139], a[18:19], v[90:91], v[136:139]// 0000000248FC: D3D70088 0E22B512
	v_mfma_i32_16x16x32_i8 v[136:139], a[20:21], v[92:93], v[136:139]// 000000024904: D3D70088 0E22B914
	v_mfma_i32_16x16x32_i8 v[136:139], a[22:23], v[94:95], v[136:139]// 00000002490C: D3D70088 0E22BD16
	v_mfma_i32_16x16x32_i8 v[140:143], a[24:25], v[88:89], 0   // 000000024914: D3D7008C 0A02B118
	v_mfma_i32_16x16x32_i8 v[140:143], a[26:27], v[90:91], v[140:143]// 00000002491C: D3D7008C 0E32B51A
	v_mfma_i32_16x16x32_i8 v[140:143], a[28:29], v[92:93], v[140:143]// 000000024924: D3D7008C 0E32B91C
	v_mfma_i32_16x16x32_i8 v[140:143], a[30:31], v[94:95], v[140:143]// 00000002492C: D3D7008C 0E32BD1E
	v_mfma_i32_16x16x32_i8 v[144:147], a[0:1], v[96:97], 0     // 000000024934: D3D70090 0A02C100
	v_mfma_i32_16x16x32_i8 v[144:147], a[2:3], v[98:99], v[144:147]// 00000002493C: D3D70090 0E42C502
	v_mfma_i32_16x16x32_i8 v[144:147], a[4:5], v[100:101], v[144:147]// 000000024944: D3D70090 0E42C904
	v_mfma_i32_16x16x32_i8 v[144:147], a[6:7], v[102:103], v[144:147]// 00000002494C: D3D70090 0E42CD06
	v_mfma_i32_16x16x32_i8 v[148:151], a[8:9], v[96:97], 0     // 000000024954: D3D70094 0A02C108
	v_mfma_i32_16x16x32_i8 v[148:151], a[10:11], v[98:99], v[148:151]// 00000002495C: D3D70094 0E52C50A
	v_mfma_i32_16x16x32_i8 v[148:151], a[12:13], v[100:101], v[148:151]// 000000024964: D3D70094 0E52C90C
	v_mfma_i32_16x16x32_i8 v[148:151], a[14:15], v[102:103], v[148:151]// 00000002496C: D3D70094 0E52CD0E
	v_mfma_i32_16x16x32_i8 v[152:155], a[16:17], v[96:97], 0   // 000000024974: D3D70098 0A02C110
	v_mfma_i32_16x16x32_i8 v[152:155], a[18:19], v[98:99], v[152:155]// 00000002497C: D3D70098 0E62C512
	v_mfma_i32_16x16x32_i8 v[152:155], a[20:21], v[100:101], v[152:155]// 000000024984: D3D70098 0E62C914
	v_mfma_i32_16x16x32_i8 v[152:155], a[22:23], v[102:103], v[152:155]// 00000002498C: D3D70098 0E62CD16
	v_mfma_i32_16x16x32_i8 v[156:159], a[24:25], v[96:97], 0   // 000000024994: D3D7009C 0A02C118
	v_mfma_i32_16x16x32_i8 v[156:159], a[26:27], v[98:99], v[156:159]// 00000002499C: D3D7009C 0E72C51A
	v_mfma_i32_16x16x32_i8 v[156:159], a[28:29], v[100:101], v[156:159]// 0000000249A4: D3D7009C 0E72C91C
	v_mfma_i32_16x16x32_i8 v[156:159], a[30:31], v[102:103], v[156:159]// 0000000249AC: D3D7009C 0E72CD1E
	v_mfma_i32_16x16x32_i8 v[160:163], a[0:1], v[104:105], 0   // 0000000249B4: D3D700A0 0A02D100
	v_mfma_i32_16x16x32_i8 v[160:163], a[2:3], v[106:107], v[160:163]// 0000000249BC: D3D700A0 0E82D502
	v_mfma_i32_16x16x32_i8 v[160:163], a[4:5], v[108:109], v[160:163]// 0000000249C4: D3D700A0 0E82D904
	v_mfma_i32_16x16x32_i8 v[160:163], a[6:7], v[110:111], v[160:163]// 0000000249CC: D3D700A0 0E82DD06
	v_mfma_i32_16x16x32_i8 v[164:167], a[8:9], v[104:105], 0   // 0000000249D4: D3D700A4 0A02D108
	v_mfma_i32_16x16x32_i8 v[164:167], a[10:11], v[106:107], v[164:167]// 0000000249DC: D3D700A4 0E92D50A
	v_mfma_i32_16x16x32_i8 v[164:167], a[12:13], v[108:109], v[164:167]// 0000000249E4: D3D700A4 0E92D90C
	v_mfma_i32_16x16x32_i8 v[164:167], a[14:15], v[110:111], v[164:167]// 0000000249EC: D3D700A4 0E92DD0E
	v_mfma_i32_16x16x32_i8 v[168:171], a[16:17], v[104:105], 0 // 0000000249F4: D3D700A8 0A02D110
	v_mfma_i32_16x16x32_i8 v[168:171], a[18:19], v[106:107], v[168:171]// 0000000249FC: D3D700A8 0EA2D512
	v_mfma_i32_16x16x32_i8 v[168:171], a[20:21], v[108:109], v[168:171]// 000000024A04: D3D700A8 0EA2D914
	v_mfma_i32_16x16x32_i8 v[168:171], a[22:23], v[110:111], v[168:171]// 000000024A0C: D3D700A8 0EA2DD16
	v_mfma_i32_16x16x32_i8 v[172:175], a[24:25], v[104:105], 0 // 000000024A14: D3D700AC 0A02D118
	v_mfma_i32_16x16x32_i8 v[172:175], a[26:27], v[106:107], v[172:175]// 000000024A1C: D3D700AC 0EB2D51A
	v_mfma_i32_16x16x32_i8 v[172:175], a[28:29], v[108:109], v[172:175]// 000000024A24: D3D700AC 0EB2D91C
	v_mfma_i32_16x16x32_i8 v[172:175], a[30:31], v[110:111], v[172:175]// 000000024A2C: D3D700AC 0EB2DD1E
	v_mov_b32_dpp v64, v42 row_shr:4 row_mask:0xf bank_mask:0xf// 000000024A34: 7E8002FA FF01142A
	v_mov_b32_dpp v65, v42 row_shl:4 row_mask:0xf bank_mask:0xf// 000000024A3C: 7E8202FA FF01042A
	v_cndmask_b32_e64 v248, v42, v64, s[44:45]                 // 000000024A44: D10000F8 00B2812A
	v_cndmask_b32_e64 v249, v65, v42, s[44:45]                 // 000000024A4C: D10000F9 00B25541
	v_mov_b32_dpp v64, v248 row_shr:8 row_mask:0xf bank_mask:0xf// 000000024A54: 7E8002FA FF0118F8
	v_mov_b32_dpp v65, v248 row_shl:8 row_mask:0xf bank_mask:0xf// 000000024A5C: 7E8202FA FF0108F8
	v_mov_b32_dpp v66, v249 row_shr:8 row_mask:0xf bank_mask:0xf// 000000024A64: 7E8402FA FF0118F9
	v_mov_b32_dpp v67, v249 row_shl:8 row_mask:0xf bank_mask:0xf// 000000024A6C: 7E8602FA FF0108F9
	v_mov_b32_e32 v68, v248                                    // 000000024A74: 7E8803F8
	v_mov_b32_e32 v69, v249                                    // 000000024A78: 7E8A03F9
	v_cndmask_b32_e64 v248, v68, v64, s[42:43]                 // 000000024A7C: D10000F8 00AA8144
	v_cndmask_b32_e64 v250, v68, v65, s[78:79]                 // 000000024A84: D10000FA 013A8344
	v_cndmask_b32_e64 v249, v69, v66, s[42:43]                 // 000000024A8C: D10000F9 00AA8545
	v_cndmask_b32_e64 v251, v69, v67, s[78:79]                 // 000000024A94: D10000FB 013A8745
	v_mov_b32_dpp v64, v57 row_shr:4 row_mask:0xf bank_mask:0xf// 000000024A9C: 7E8002FA FF011439
	v_mov_b32_dpp v65, v57 row_shl:4 row_mask:0xf bank_mask:0xf// 000000024AA4: 7E8202FA FF010439
	v_cndmask_b32_e64 v252, v57, v64, s[44:45]                 // 000000024AAC: D10000FC 00B28139
	v_cndmask_b32_e64 v253, v65, v57, s[44:45]                 // 000000024AB4: D10000FD 00B27341
	v_mov_b32_dpp v64, v252 row_shr:8 row_mask:0xf bank_mask:0xf// 000000024ABC: 7E8002FA FF0118FC
	v_mov_b32_dpp v65, v252 row_shl:8 row_mask:0xf bank_mask:0xf// 000000024AC4: 7E8202FA FF0108FC
	v_mov_b32_dpp v66, v253 row_shr:8 row_mask:0xf bank_mask:0xf// 000000024ACC: 7E8402FA FF0118FD
	v_mov_b32_dpp v67, v253 row_shl:8 row_mask:0xf bank_mask:0xf// 000000024AD4: 7E8602FA FF0108FD
	v_mov_b32_e32 v68, v252                                    // 000000024ADC: 7E8803FC
	v_mov_b32_e32 v69, v253                                    // 000000024AE0: 7E8A03FD
	v_cndmask_b32_e64 v252, v68, v64, s[42:43]                 // 000000024AE4: D10000FC 00AA8144
	v_cndmask_b32_e64 v254, v68, v65, s[78:79]                 // 000000024AEC: D10000FE 013A8344
	v_cndmask_b32_e64 v253, v69, v66, s[42:43]                 // 000000024AF4: D10000FD 00AA8545
	v_cndmask_b32_e64 v255, v69, v67, s[78:79]                 // 000000024AFC: D10000FF 013A8745
	v_cvt_f32_i32_e32 v112, v112                               // 000000024B04: 7EE00B70
	v_cvt_f32_i32_e32 v113, v113                               // 000000024B08: 7EE20B71
	v_cvt_f32_i32_e32 v114, v114                               // 000000024B0C: 7EE40B72
	v_cvt_f32_i32_e32 v115, v115                               // 000000024B10: 7EE60B73
	v_cvt_f32_i32_e32 v116, v116                               // 000000024B14: 7EE80B74
	v_cvt_f32_i32_e32 v117, v117                               // 000000024B18: 7EEA0B75
	v_cvt_f32_i32_e32 v118, v118                               // 000000024B1C: 7EEC0B76
	v_cvt_f32_i32_e32 v119, v119                               // 000000024B20: 7EEE0B77
	v_cvt_f32_i32_e32 v120, v120                               // 000000024B24: 7EF00B78
	v_cvt_f32_i32_e32 v121, v121                               // 000000024B28: 7EF20B79
	v_cvt_f32_i32_e32 v122, v122                               // 000000024B2C: 7EF40B7A
	v_cvt_f32_i32_e32 v123, v123                               // 000000024B30: 7EF60B7B
	v_cvt_f32_i32_e32 v124, v124                               // 000000024B34: 7EF80B7C
	v_cvt_f32_i32_e32 v125, v125                               // 000000024B38: 7EFA0B7D
	v_cvt_f32_i32_e32 v126, v126                               // 000000024B3C: 7EFC0B7E
	v_cvt_f32_i32_e32 v127, v127                               // 000000024B40: 7EFE0B7F
	v_mul_f32_e32 v112, v18, v112                              // 000000024B44: 0AE0E112
	v_mul_f32_e32 v113, v18, v113                              // 000000024B48: 0AE2E312
	v_mul_f32_e32 v114, v18, v114                              // 000000024B4C: 0AE4E512
	v_mul_f32_e32 v115, v18, v115                              // 000000024B50: 0AE6E712
	v_mul_f32_e32 v116, v18, v116                              // 000000024B54: 0AE8E912
	v_mul_f32_e32 v117, v18, v117                              // 000000024B58: 0AEAEB12
	v_mul_f32_e32 v118, v18, v118                              // 000000024B5C: 0AECED12
	v_mul_f32_e32 v119, v18, v119                              // 000000024B60: 0AEEEF12
	v_mul_f32_e32 v120, v18, v120                              // 000000024B64: 0AF0F112
	v_mul_f32_e32 v121, v18, v121                              // 000000024B68: 0AF2F312
	v_mul_f32_e32 v122, v18, v122                              // 000000024B6C: 0AF4F512
	v_mul_f32_e32 v123, v18, v123                              // 000000024B70: 0AF6F712
	v_mul_f32_e32 v124, v18, v124                              // 000000024B74: 0AF8F912
	v_mul_f32_e32 v125, v18, v125                              // 000000024B78: 0AFAFB12
	v_mul_f32_e32 v126, v18, v126                              // 000000024B7C: 0AFCFD12
	v_mul_f32_e32 v127, v18, v127                              // 000000024B80: 0AFEFF12
	v_mul_f32_dpp v112, v248, v112 quad_perm:[0,0,0,0] row_mask:0xf bank_mask:0xf// 000000024B84: 0AE0E0FA FF0000F8
	v_mul_f32_dpp v113, v248, v113 quad_perm:[1,1,1,1] row_mask:0xf bank_mask:0xf// 000000024B8C: 0AE2E2FA FF0055F8
	v_mul_f32_dpp v114, v248, v114 quad_perm:[2,2,2,2] row_mask:0xf bank_mask:0xf// 000000024B94: 0AE4E4FA FF00AAF8
	v_mul_f32_dpp v115, v248, v115 quad_perm:[3,3,3,3] row_mask:0xf bank_mask:0xf// 000000024B9C: 0AE6E6FA FF00FFF8
	v_mul_f32_dpp v116, v249, v116 quad_perm:[0,0,0,0] row_mask:0xf bank_mask:0xf// 000000024BA4: 0AE8E8FA FF0000F9
	v_mul_f32_dpp v117, v249, v117 quad_perm:[1,1,1,1] row_mask:0xf bank_mask:0xf// 000000024BAC: 0AEAEAFA FF0055F9
	v_mul_f32_dpp v118, v249, v118 quad_perm:[2,2,2,2] row_mask:0xf bank_mask:0xf// 000000024BB4: 0AECECFA FF00AAF9
	v_mul_f32_dpp v119, v249, v119 quad_perm:[3,3,3,3] row_mask:0xf bank_mask:0xf// 000000024BBC: 0AEEEEFA FF00FFF9
	v_mul_f32_dpp v120, v250, v120 quad_perm:[0,0,0,0] row_mask:0xf bank_mask:0xf// 000000024BC4: 0AF0F0FA FF0000FA
	v_mul_f32_dpp v121, v250, v121 quad_perm:[1,1,1,1] row_mask:0xf bank_mask:0xf// 000000024BCC: 0AF2F2FA FF0055FA
	v_mul_f32_dpp v122, v250, v122 quad_perm:[2,2,2,2] row_mask:0xf bank_mask:0xf// 000000024BD4: 0AF4F4FA FF00AAFA
	v_mul_f32_dpp v123, v250, v123 quad_perm:[3,3,3,3] row_mask:0xf bank_mask:0xf// 000000024BDC: 0AF6F6FA FF00FFFA
	v_mul_f32_dpp v124, v251, v124 quad_perm:[0,0,0,0] row_mask:0xf bank_mask:0xf// 000000024BE4: 0AF8F8FA FF0000FB
	v_mul_f32_dpp v125, v251, v125 quad_perm:[1,1,1,1] row_mask:0xf bank_mask:0xf// 000000024BEC: 0AFAFAFA FF0055FB
	v_mul_f32_dpp v126, v251, v126 quad_perm:[2,2,2,2] row_mask:0xf bank_mask:0xf// 000000024BF4: 0AFCFCFA FF00AAFB
	v_mul_f32_dpp v127, v251, v127 quad_perm:[3,3,3,3] row_mask:0xf bank_mask:0xf// 000000024BFC: 0AFEFEFA FF00FFFB
	s_and_b32 s60, s72, 0xff                                   // 000000024C04: 863CFF48 000000FF
	v_mov_b32_e32 v65, s60                                     // 000000024C0C: 7E82023C
	v_lshrrev_b32_e32 v240, 4, v0                              // 000000024C10: 21E00084
	v_mul_i32_i24_e32 v240, 4, v240                            // 000000024C14: 0DE1E084
	s_mul_i32 s60, s7, 16                                      // 000000024C18: 923C9007
	v_add_u32_e32 v240, s60, v240                              // 000000024C1C: 69E1E03C
	v_add_u32_e32 v241, 1, v240                                // 000000024C20: 69E3E081
	v_add_u32_e32 v242, 2, v240                                // 000000024C24: 69E5E082
	v_add_u32_e32 v243, 3, v240                                // 000000024C28: 69E7E083
	v_mov_b32_e32 v64, 0xff800000                              // 000000024C2C: 7E8002FF FF800000
	v_cmp_lt_u32_e64 s[40:41], v240, v65                       // 000000024C34: D0C90028 000283F0
	v_add_u32_e32 v240, 64, v240                               // 000000024C3C: 69E1E0C0
	s_nop 0                                                    // 000000024C40: BF800000
	v_cndmask_b32_e64 v112, v64, v112, s[40:41]                // 000000024C44: D1000070 00A2E140
	v_cmp_lt_u32_e64 s[40:41], v241, v65                       // 000000024C4C: D0C90028 000283F1
	v_add_u32_e32 v241, 64, v241                               // 000000024C54: 69E3E2C0
	s_nop 0                                                    // 000000024C58: BF800000
	v_cndmask_b32_e64 v113, v64, v113, s[40:41]                // 000000024C5C: D1000071 00A2E340
	v_cmp_lt_u32_e64 s[40:41], v242, v65                       // 000000024C64: D0C90028 000283F2
	v_add_u32_e32 v242, 64, v242                               // 000000024C6C: 69E5E4C0
	s_nop 0                                                    // 000000024C70: BF800000
	v_cndmask_b32_e64 v114, v64, v114, s[40:41]                // 000000024C74: D1000072 00A2E540
	v_cmp_lt_u32_e64 s[40:41], v243, v65                       // 000000024C7C: D0C90028 000283F3
	v_add_u32_e32 v243, 64, v243                               // 000000024C84: 69E7E6C0
	s_nop 0                                                    // 000000024C88: BF800000
	v_cndmask_b32_e64 v115, v64, v115, s[40:41]                // 000000024C8C: D1000073 00A2E740
	v_cmp_lt_u32_e64 s[40:41], v240, v65                       // 000000024C94: D0C90028 000283F0
	v_add_u32_e32 v240, 64, v240                               // 000000024C9C: 69E1E0C0
	s_nop 0                                                    // 000000024CA0: BF800000
	v_cndmask_b32_e64 v116, v64, v116, s[40:41]                // 000000024CA4: D1000074 00A2E940
	v_cmp_lt_u32_e64 s[40:41], v241, v65                       // 000000024CAC: D0C90028 000283F1
	v_add_u32_e32 v241, 64, v241                               // 000000024CB4: 69E3E2C0
	s_nop 0                                                    // 000000024CB8: BF800000
	v_cndmask_b32_e64 v117, v64, v117, s[40:41]                // 000000024CBC: D1000075 00A2EB40
	v_cmp_lt_u32_e64 s[40:41], v242, v65                       // 000000024CC4: D0C90028 000283F2
	v_add_u32_e32 v242, 64, v242                               // 000000024CCC: 69E5E4C0
	s_nop 0                                                    // 000000024CD0: BF800000
	v_cndmask_b32_e64 v118, v64, v118, s[40:41]                // 000000024CD4: D1000076 00A2ED40
	v_cmp_lt_u32_e64 s[40:41], v243, v65                       // 000000024CDC: D0C90028 000283F3
	v_add_u32_e32 v243, 64, v243                               // 000000024CE4: 69E7E6C0
	s_nop 0                                                    // 000000024CE8: BF800000
	v_cndmask_b32_e64 v119, v64, v119, s[40:41]                // 000000024CEC: D1000077 00A2EF40
	v_cmp_lt_u32_e64 s[40:41], v240, v65                       // 000000024CF4: D0C90028 000283F0
	v_add_u32_e32 v240, 64, v240                               // 000000024CFC: 69E1E0C0
	s_nop 0                                                    // 000000024D00: BF800000
	v_cndmask_b32_e64 v120, v64, v120, s[40:41]                // 000000024D04: D1000078 00A2F140
	v_cmp_lt_u32_e64 s[40:41], v241, v65                       // 000000024D0C: D0C90028 000283F1
	v_add_u32_e32 v241, 64, v241                               // 000000024D14: 69E3E2C0
	s_nop 0                                                    // 000000024D18: BF800000
	v_cndmask_b32_e64 v121, v64, v121, s[40:41]                // 000000024D1C: D1000079 00A2F340
	v_cmp_lt_u32_e64 s[40:41], v242, v65                       // 000000024D24: D0C90028 000283F2
	v_add_u32_e32 v242, 64, v242                               // 000000024D2C: 69E5E4C0
	s_nop 0                                                    // 000000024D30: BF800000
	v_cndmask_b32_e64 v122, v64, v122, s[40:41]                // 000000024D34: D100007A 00A2F540
	v_cmp_lt_u32_e64 s[40:41], v243, v65                       // 000000024D3C: D0C90028 000283F3
	v_add_u32_e32 v243, 64, v243                               // 000000024D44: 69E7E6C0
	s_nop 0                                                    // 000000024D48: BF800000
	v_cndmask_b32_e64 v123, v64, v123, s[40:41]                // 000000024D4C: D100007B 00A2F740
	v_cmp_lt_u32_e64 s[40:41], v240, v65                       // 000000024D54: D0C90028 000283F0
	v_add_u32_e32 v240, 64, v240                               // 000000024D5C: 69E1E0C0
	s_nop 0                                                    // 000000024D60: BF800000
	v_cndmask_b32_e64 v124, v64, v124, s[40:41]                // 000000024D64: D100007C 00A2F940
	v_cmp_lt_u32_e64 s[40:41], v241, v65                       // 000000024D6C: D0C90028 000283F1
	v_add_u32_e32 v241, 64, v241                               // 000000024D74: 69E3E2C0
	s_nop 0                                                    // 000000024D78: BF800000
	v_cndmask_b32_e64 v125, v64, v125, s[40:41]                // 000000024D7C: D100007D 00A2FB40
	v_cmp_lt_u32_e64 s[40:41], v242, v65                       // 000000024D84: D0C90028 000283F2
	v_add_u32_e32 v242, 64, v242                               // 000000024D8C: 69E5E4C0
	s_nop 0                                                    // 000000024D90: BF800000
	v_cndmask_b32_e64 v126, v64, v126, s[40:41]                // 000000024D94: D100007E 00A2FD40
	v_cmp_lt_u32_e64 s[40:41], v243, v65                       // 000000024D9C: D0C90028 000283F3
	v_add_u32_e32 v243, 64, v243                               // 000000024DA4: 69E7E6C0
	s_nop 0                                                    // 000000024DA8: BF800000
	v_cndmask_b32_e64 v127, v64, v127, s[40:41]                // 000000024DAC: D100007F 00A2FF40
	v_mov_b32_e32 v48, v112                                    // 000000024DB4: 7E600370
	v_max3_f32 v48, v112, v113, v48                            // 000000024DB8: D1D30030 04C2E370
	v_max3_f32 v48, v114, v115, v48                            // 000000024DC0: D1D30030 04C2E772
	v_max3_f32 v48, v116, v117, v48                            // 000000024DC8: D1D30030 04C2EB74
	v_max3_f32 v48, v118, v119, v48                            // 000000024DD0: D1D30030 04C2EF76
	v_max3_f32 v48, v120, v121, v48                            // 000000024DD8: D1D30030 04C2F378
	v_max3_f32 v48, v122, v123, v48                            // 000000024DE0: D1D30030 04C2F77A
	v_max3_f32 v48, v124, v125, v48                            // 000000024DE8: D1D30030 04C2FB7C
	v_max3_f32 v48, v126, v127, v48                            // 000000024DF0: D1D30030 04C2FF7E
	ds_write_b32 v8, v48 offset:16896                          // 000000024DF8: D81A4200 00003008
	v_mul_u32_u24_dpp v64, v17, v54 row_newbcast:1 row_mask:0xf bank_mask:0xf// 000000024E00: 10806CFA FF015111
	v_mul_u32_u24_dpp v65, v17, v54 row_newbcast:5 row_mask:0xf bank_mask:0xf// 000000024E08: 10826CFA FF015511
	v_mul_u32_u24_dpp v66, v17, v54 row_newbcast:9 row_mask:0xf bank_mask:0xf// 000000024E10: 10846CFA FF015911
	v_mul_u32_u24_dpp v67, v17, v54 row_newbcast:13 row_mask:0xf bank_mask:0xf// 000000024E18: 10866CFA FF015D11
	v_add_u32_e32 v34, v64, v6                                 // 000000024E20: 68440D40
	v_add_u32_e32 v35, v65, v6                                 // 000000024E24: 68460D41
	v_add_u32_e32 v36, v66, v6                                 // 000000024E28: 68480D42
	v_add_u32_e32 v37, v67, v6                                 // 000000024E2C: 684A0D43
	v_mul_f32_e32 v208, v49, v208                              // 000000024E30: 0BA1A131
	v_mul_f32_e32 v209, v49, v209                              // 000000024E34: 0BA3A331
	v_mul_f32_e32 v210, v49, v210                              // 000000024E38: 0BA5A531
	v_mul_f32_e32 v211, v49, v211                              // 000000024E3C: 0BA7A731
	v_mul_f32_e32 v212, v49, v212                              // 000000024E40: 0BA9A931
	v_mul_f32_e32 v213, v49, v213                              // 000000024E44: 0BABAB31
	v_mul_f32_e32 v214, v49, v214                              // 000000024E48: 0BADAD31
	v_mul_f32_e32 v215, v49, v215                              // 000000024E4C: 0BAFAF31
	s_waitcnt lgkmcnt(0)                                       // 000000024E50: BF8CC07F
	s_barrier                                                  // 000000024E54: BF8A0000
	ds_read_b32 v64, v7 offset:16896                           // 000000024E58: D86C4200 40000007
	ds_read_b32 v65, v7 offset:16960                           // 000000024E60: D86C4240 41000007
	ds_read_b32 v66, v7 offset:17024                           // 000000024E68: D86C4280 42000007
	ds_read_b32 v67, v7 offset:17088                           // 000000024E70: D86C42C0 43000007
	ds_read_b32 v68, v7 offset:17152                           // 000000024E78: D86C4300 44000007
	ds_read_b32 v69, v7 offset:17216                           // 000000024E80: D86C4340 45000007
	ds_read_b32 v70, v7 offset:17280                           // 000000024E88: D86C4380 46000007
	ds_read_b32 v71, v7 offset:17344                           // 000000024E90: D86C43C0 47000007
	ds_read_b32 v72, v7 offset:17408                           // 000000024E98: D86C4400 48000007
	ds_read_b32 v73, v7 offset:17472                           // 000000024EA0: D86C4440 49000007
	ds_read_b32 v74, v7 offset:17536                           // 000000024EA8: D86C4480 4A000007
	ds_read_b32 v75, v7 offset:17600                           // 000000024EB0: D86C44C0 4B000007
	ds_read_b32 v76, v7 offset:17664                           // 000000024EB8: D86C4500 4C000007
	ds_read_b32 v77, v7 offset:17728                           // 000000024EC0: D86C4540 4D000007
	ds_read_b32 v78, v7 offset:17792                           // 000000024EC8: D86C4580 4E000007
	ds_read_b32 v79, v7 offset:17856                           // 000000024ED0: D86C45C0 4F000007
	v_cvt_f32_i32_e32 v176, v176                               // 000000024ED8: 7F600BB0
	v_cvt_f32_i32_e32 v177, v177                               // 000000024EDC: 7F620BB1
	v_cvt_f32_i32_e32 v178, v178                               // 000000024EE0: 7F640BB2
	v_cvt_f32_i32_e32 v179, v179                               // 000000024EE4: 7F660BB3
	v_cvt_f32_i32_e32 v180, v180                               // 000000024EE8: 7F680BB4
	v_cvt_f32_i32_e32 v181, v181                               // 000000024EEC: 7F6A0BB5
	v_cvt_f32_i32_e32 v182, v182                               // 000000024EF0: 7F6C0BB6
	v_cvt_f32_i32_e32 v183, v183                               // 000000024EF4: 7F6E0BB7
	v_mul_f32_e32 v176, v44, v176                              // 000000024EF8: 0B61612C
	v_mul_f32_e32 v177, v44, v177                              // 000000024EFC: 0B63632C
	v_mul_f32_e32 v178, v44, v178                              // 000000024F00: 0B65652C
	v_mul_f32_e32 v179, v44, v179                              // 000000024F04: 0B67672C
	v_mul_f32_e32 v180, v44, v180                              // 000000024F08: 0B69692C
	v_mul_f32_e32 v181, v44, v181                              // 000000024F0C: 0B6B6B2C
	v_mul_f32_e32 v182, v44, v182                              // 000000024F10: 0B6D6D2C
	v_mul_f32_e32 v183, v44, v183                              // 000000024F14: 0B6F6F2C
	s_waitcnt lgkmcnt(0)                                       // 000000024F18: BF8CC07F
	v_max3_f32 v48, v64, v65, v48                              // 000000024F1C: D1D30030 04C28340
	v_max3_f32 v48, v66, v67, v48                              // 000000024F24: D1D30030 04C28742
	v_max3_f32 v48, v68, v69, v48                              // 000000024F2C: D1D30030 04C28B44
	v_max3_f32 v48, v70, v71, v48                              // 000000024F34: D1D30030 04C28F46
	v_max3_f32 v48, v72, v73, v48                              // 000000024F3C: D1D30030 04C29348
	v_max3_f32 v48, v74, v75, v48                              // 000000024F44: D1D30030 04C2974A
	v_max3_f32 v48, v76, v77, v48                              // 000000024F4C: D1D30030 04C29B4C
	v_max3_f32 v48, v78, v79, v48                              // 000000024F54: D1D30030 04C29F4E
	v_mov_b32_e32 v64, 0xff800000                              // 000000024F5C: 7E8002FF FF800000
	v_cmp_eq_u32_e64 s[40:41], v64, v11                        // 000000024F64: D0CA0028 00021740
	s_nop 1                                                    // 000000024F6C: BF800001
	v_max_f32_e32 v15, v48, v11                                // 000000024F70: 161E1730
	v_mul_f32_e32 v53, s64, v15                                // 000000024F74: 0A6A1E40
	v_fma_f32 v112, v112, s64, -v53                            // 000000024F78: D1CB0070 84D48170
	v_fma_f32 v113, v113, s64, -v53                            // 000000024F80: D1CB0071 84D48171
	v_fma_f32 v114, v114, s64, -v53                            // 000000024F88: D1CB0072 84D48172
	v_fma_f32 v115, v115, s64, -v53                            // 000000024F90: D1CB0073 84D48173
	v_fma_f32 v116, v116, s64, -v53                            // 000000024F98: D1CB0074 84D48174
	v_fma_f32 v117, v117, s64, -v53                            // 000000024FA0: D1CB0075 84D48175
	v_fma_f32 v118, v118, s64, -v53                            // 000000024FA8: D1CB0076 84D48176
	v_fma_f32 v119, v119, s64, -v53                            // 000000024FB0: D1CB0077 84D48177
	v_fma_f32 v120, v120, s64, -v53                            // 000000024FB8: D1CB0078 84D48178
	v_fma_f32 v121, v121, s64, -v53                            // 000000024FC0: D1CB0079 84D48179
	v_fma_f32 v122, v122, s64, -v53                            // 000000024FC8: D1CB007A 84D4817A
	v_fma_f32 v123, v123, s64, -v53                            // 000000024FD0: D1CB007B 84D4817B
	v_fma_f32 v124, v124, s64, -v53                            // 000000024FD8: D1CB007C 84D4817C
	v_fma_f32 v125, v125, s64, -v53                            // 000000024FE0: D1CB007D 84D4817D
	v_fma_f32 v126, v126, s64, -v53                            // 000000024FE8: D1CB007E 84D4817E
	v_fma_f32 v127, v127, s64, -v53                            // 000000024FF0: D1CB007F 84D4817F
	v_exp_f32_e32 v112, v112                                   // 000000024FF8: 7EE04170
	v_exp_f32_e32 v113, v113                                   // 000000024FFC: 7EE24171
	v_exp_f32_e32 v114, v114                                   // 000000025000: 7EE44172
	v_exp_f32_e32 v115, v115                                   // 000000025004: 7EE64173
	v_exp_f32_e32 v116, v116                                   // 000000025008: 7EE84174
	v_exp_f32_e32 v117, v117                                   // 00000002500C: 7EEA4175
	v_exp_f32_e32 v118, v118                                   // 000000025010: 7EEC4176
	v_exp_f32_e32 v119, v119                                   // 000000025014: 7EEE4177
	v_exp_f32_e32 v120, v120                                   // 000000025018: 7EF04178
	v_exp_f32_e32 v121, v121                                   // 00000002501C: 7EF24179
	v_exp_f32_e32 v122, v122                                   // 000000025020: 7EF4417A
	v_exp_f32_e32 v123, v123                                   // 000000025024: 7EF6417B
	v_exp_f32_e32 v124, v124                                   // 000000025028: 7EF8417C
	v_exp_f32_e32 v125, v125                                   // 00000002502C: 7EFA417D
	v_exp_f32_e32 v126, v126                                   // 000000025030: 7EFC417E
	v_exp_f32_e32 v127, v127                                   // 000000025034: 7EFE417F
	v_mul_f32_dpp v240, v252, v112 quad_perm:[0,0,0,0] row_mask:0xf bank_mask:0xf// 000000025038: 0BE0E0FA FF0000FC
	v_mul_f32_dpp v241, v252, v113 quad_perm:[1,1,1,1] row_mask:0xf bank_mask:0xf// 000000025040: 0BE2E2FA FF0055FC
	v_mul_f32_dpp v242, v252, v114 quad_perm:[2,2,2,2] row_mask:0xf bank_mask:0xf// 000000025048: 0BE4E4FA FF00AAFC
	v_mul_f32_dpp v243, v252, v115 quad_perm:[3,3,3,3] row_mask:0xf bank_mask:0xf// 000000025050: 0BE6E6FA FF00FFFC
	v_mul_f32_dpp v244, v253, v116 quad_perm:[0,0,0,0] row_mask:0xf bank_mask:0xf// 000000025058: 0BE8E8FA FF0000FD
	v_mul_f32_dpp v245, v253, v117 quad_perm:[1,1,1,1] row_mask:0xf bank_mask:0xf// 000000025060: 0BEAEAFA FF0055FD
	v_mul_f32_dpp v246, v253, v118 quad_perm:[2,2,2,2] row_mask:0xf bank_mask:0xf// 000000025068: 0BECECFA FF00AAFD
	v_mul_f32_dpp v247, v253, v119 quad_perm:[3,3,3,3] row_mask:0xf bank_mask:0xf// 000000025070: 0BEEEEFA FF00FFFD
	v_mul_f32_dpp v248, v254, v120 quad_perm:[0,0,0,0] row_mask:0xf bank_mask:0xf// 000000025078: 0BF0F0FA FF0000FE
	v_mul_f32_dpp v249, v254, v121 quad_perm:[1,1,1,1] row_mask:0xf bank_mask:0xf// 000000025080: 0BF2F2FA FF0055FE
	v_mul_f32_dpp v250, v254, v122 quad_perm:[2,2,2,2] row_mask:0xf bank_mask:0xf// 000000025088: 0BF4F4FA FF00AAFE
	v_mul_f32_dpp v251, v254, v123 quad_perm:[3,3,3,3] row_mask:0xf bank_mask:0xf// 000000025090: 0BF6F6FA FF00FFFE
	v_mul_f32_dpp v252, v255, v124 quad_perm:[0,0,0,0] row_mask:0xf bank_mask:0xf// 000000025098: 0BF8F8FA FF0000FF
	v_mul_f32_dpp v253, v255, v125 quad_perm:[1,1,1,1] row_mask:0xf bank_mask:0xf// 0000000250A0: 0BFAFAFA FF0055FF
	v_mul_f32_dpp v254, v255, v126 quad_perm:[2,2,2,2] row_mask:0xf bank_mask:0xf// 0000000250A8: 0BFCFCFA FF00AAFF
	v_mul_f32_dpp v255, v255, v127 quad_perm:[3,3,3,3] row_mask:0xf bank_mask:0xf// 0000000250B0: 0BFEFEFA FF00FFFF
	v_mov_b32_e32 v48, 0x358637bd                              // 0000000250B8: 7E6002FF 358637BD
	v_max3_f32 v48, |v240|, |v241|, v48                        // 0000000250C0: D1D30330 04C3E3F0
	v_max3_f32 v48, |v242|, |v243|, v48                        // 0000000250C8: D1D30330 04C3E7F2
	v_max3_f32 v48, |v244|, |v245|, v48                        // 0000000250D0: D1D30330 04C3EBF4
	v_max3_f32 v48, |v246|, |v247|, v48                        // 0000000250D8: D1D30330 04C3EFF6
	v_max3_f32 v48, |v248|, |v249|, v48                        // 0000000250E0: D1D30330 04C3F3F8
	v_max3_f32 v48, |v250|, |v251|, v48                        // 0000000250E8: D1D30330 04C3F7FA
	v_max3_f32 v48, |v252|, |v253|, v48                        // 0000000250F0: D1D30330 04C3FBFC
	v_max3_f32 v48, |v254|, |v255|, v48                        // 0000000250F8: D1D30330 04C3FFFE
	ds_write_b32 v8, v48 offset:20992                          // 000000025100: D81A5200 00003008
	v_sub_f32_e32 v49, v11, v15                                // 000000025108: 04621F0B
	v_cndmask_b32_e64 v49, v49, 0, s[40:41]                    // 00000002510C: D1000031 00A10131
	v_mov_b32_e32 v11, v15                                     // 000000025114: 7E16030F
	v_mul_f32_e32 v49, s64, v49                                // 000000025118: 0A626240
	v_exp_f32_e32 v49, v49                                     // 00000002511C: 7E624131
	s_waitcnt lgkmcnt(0)                                       // 000000025120: BF8CC07F
	s_barrier                                                  // 000000025124: BF8A0000
	ds_read_b32 v64, v7 offset:20992                           // 000000025128: D86C5200 40000007
	ds_read_b32 v65, v7 offset:21056                           // 000000025130: D86C5240 41000007
	ds_read_b32 v66, v7 offset:21120                           // 000000025138: D86C5280 42000007
	ds_read_b32 v67, v7 offset:21184                           // 000000025140: D86C52C0 43000007
	ds_read_b32 v68, v7 offset:21248                           // 000000025148: D86C5300 44000007
	ds_read_b32 v69, v7 offset:21312                           // 000000025150: D86C5340 45000007
	ds_read_b32 v70, v7 offset:21376                           // 000000025158: D86C5380 46000007
	ds_read_b32 v71, v7 offset:21440                           // 000000025160: D86C53C0 47000007
	ds_read_b32 v72, v7 offset:21504                           // 000000025168: D86C5400 48000007
	ds_read_b32 v73, v7 offset:21568                           // 000000025170: D86C5440 49000007
	ds_read_b32 v74, v7 offset:21632                           // 000000025178: D86C5480 4A000007
	ds_read_b32 v75, v7 offset:21696                           // 000000025180: D86C54C0 4B000007
	ds_read_b32 v76, v7 offset:21760                           // 000000025188: D86C5500 4C000007
	ds_read_b32 v77, v7 offset:21824                           // 000000025190: D86C5540 4D000007
	ds_read_b32 v78, v7 offset:21888                           // 000000025198: D86C5580 4E000007
	ds_read_b32 v79, v7 offset:21952                           // 0000000251A0: D86C55C0 4F000007
	v_mul_f32_e32 v38, v49, v38                                // 0000000251A8: 0A4C4D31
	v_mov_b32_e32 v15, v112                                    // 0000000251AC: 7E1E0370
	v_add_f32_e32 v15, v113, v15                               // 0000000251B0: 021E1F71
	v_add_f32_e32 v15, v114, v15                               // 0000000251B4: 021E1F72
	v_add_f32_e32 v15, v115, v15                               // 0000000251B8: 021E1F73
	v_add_f32_e32 v15, v116, v15                               // 0000000251BC: 021E1F74
	v_add_f32_e32 v15, v117, v15                               // 0000000251C0: 021E1F75
	v_add_f32_e32 v15, v118, v15                               // 0000000251C4: 021E1F76
	v_add_f32_e32 v15, v119, v15                               // 0000000251C8: 021E1F77
	v_add_f32_e32 v15, v120, v15                               // 0000000251CC: 021E1F78
	v_add_f32_e32 v15, v121, v15                               // 0000000251D0: 021E1F79
	v_add_f32_e32 v15, v122, v15                               // 0000000251D4: 021E1F7A
	v_add_f32_e32 v15, v123, v15                               // 0000000251D8: 021E1F7B
	v_add_f32_e32 v15, v124, v15                               // 0000000251DC: 021E1F7C
	v_add_f32_e32 v15, v125, v15                               // 0000000251E0: 021E1F7D
	v_add_f32_e32 v15, v126, v15                               // 0000000251E4: 021E1F7E
	v_add_f32_e32 v15, v127, v15                               // 0000000251E8: 021E1F7F
	v_add_f32_e32 v38, v15, v38                                // 0000000251EC: 024C4D0F
	s_waitcnt lgkmcnt(0)                                       // 0000000251F0: BF8CC07F
	v_max3_f32 v48, |v64|, |v65|, v48                          // 0000000251F4: D1D30330 04C28340
	v_max3_f32 v48, |v66|, |v67|, v48                          // 0000000251FC: D1D30330 04C28742
	v_max3_f32 v48, |v68|, |v69|, v48                          // 000000025204: D1D30330 04C28B44
	v_max3_f32 v48, |v70|, |v71|, v48                          // 00000002520C: D1D30330 04C28F46
	v_max3_f32 v48, |v72|, |v73|, v48                          // 000000025214: D1D30330 04C29348
	v_max3_f32 v48, |v74|, |v75|, v48                          // 00000002521C: D1D30330 04C2974A
	v_max3_f32 v48, |v76|, |v77|, v48                          // 000000025224: D1D30330 04C29B4C
	v_max3_f32 v48, |v78|, |v79|, v48                          // 00000002522C: D1D30330 04C29F4E
	s_nop 2                                                    // 000000025234: BF800002
	v_rcp_f32_e32 v48, v48                                     // 000000025238: 7E604530
	s_nop 1                                                    // 00000002523C: BF800001
	v_mul_f32_e32 v48, 0x42fe0000, v48                         // 000000025240: 0A6060FF 42FE0000
	v_mul_f32_e32 v112, v48, v240                              // 000000025248: 0AE1E130
	v_mul_f32_e32 v113, v48, v241                              // 00000002524C: 0AE3E330
	v_mul_f32_e32 v114, v48, v242                              // 000000025250: 0AE5E530
	v_mul_f32_e32 v115, v48, v243                              // 000000025254: 0AE7E730
	v_mul_f32_e32 v116, v48, v244                              // 000000025258: 0AE9E930
	v_mul_f32_e32 v117, v48, v245                              // 00000002525C: 0AEBEB30
	v_mul_f32_e32 v118, v48, v246                              // 000000025260: 0AEDED30
	v_mul_f32_e32 v119, v48, v247                              // 000000025264: 0AEFEF30
	v_mul_f32_e32 v120, v48, v248                              // 000000025268: 0AF1F130
	v_mul_f32_e32 v121, v48, v249                              // 00000002526C: 0AF3F330
	v_mul_f32_e32 v122, v48, v250                              // 000000025270: 0AF5F530
	v_mul_f32_e32 v123, v48, v251                              // 000000025274: 0AF7F730
	v_mul_f32_e32 v124, v48, v252                              // 000000025278: 0AF9F930
	v_mul_f32_e32 v125, v48, v253                              // 00000002527C: 0AFBFB30
	v_mul_f32_e32 v126, v48, v254                              // 000000025280: 0AFDFD30
	v_mul_f32_e32 v127, v48, v255                              // 000000025284: 0AFFFF30
	v_cvt_i32_f32_e32 v112, v112                               // 000000025288: 7EE01170
	v_cvt_i32_f32_e32 v113, v113                               // 00000002528C: 7EE21171
	v_cvt_i32_f32_e32 v114, v114                               // 000000025290: 7EE41172
	v_cvt_i32_f32_e32 v115, v115                               // 000000025294: 7EE61173
	v_cvt_i32_f32_e32 v116, v116                               // 000000025298: 7EE81174
	v_cvt_i32_f32_e32 v117, v117                               // 00000002529C: 7EEA1175
	v_cvt_i32_f32_e32 v118, v118                               // 0000000252A0: 7EEC1176
	v_cvt_i32_f32_e32 v119, v119                               // 0000000252A4: 7EEE1177
	v_cvt_i32_f32_e32 v120, v120                               // 0000000252A8: 7EF01178
	v_cvt_i32_f32_e32 v121, v121                               // 0000000252AC: 7EF21179
	v_cvt_i32_f32_e32 v122, v122                               // 0000000252B0: 7EF4117A
	v_cvt_i32_f32_e32 v123, v123                               // 0000000252B4: 7EF6117B
	v_cvt_i32_f32_e32 v124, v124                               // 0000000252B8: 7EF8117C
	v_cvt_i32_f32_e32 v125, v125                               // 0000000252BC: 7EFA117D
	v_cvt_i32_f32_e32 v126, v126                               // 0000000252C0: 7EFC117E
	v_cvt_i32_f32_e32 v127, v127                               // 0000000252C4: 7EFE117F
	v_perm_b32 v112, v113, v112, s53                           // 0000000252C8: D1ED0070 00D6E171
	v_perm_b32 v112, v114, v112, s54                           // 0000000252D0: D1ED0070 00DAE172
	v_perm_b32 v112, v115, v112, s55                           // 0000000252D8: D1ED0070 00DEE173
	v_perm_b32 v113, v117, v116, s53                           // 0000000252E0: D1ED0071 00D6E975
	v_perm_b32 v113, v118, v113, s54                           // 0000000252E8: D1ED0071 00DAE376
	v_perm_b32 v113, v119, v113, s55                           // 0000000252F0: D1ED0071 00DEE377
	v_perm_b32 v114, v121, v120, s53                           // 0000000252F8: D1ED0072 00D6F179
	v_perm_b32 v114, v122, v114, s54                           // 000000025300: D1ED0072 00DAE57A
	v_perm_b32 v114, v123, v114, s55                           // 000000025308: D1ED0072 00DEE57B
	v_perm_b32 v115, v125, v124, s53                           // 000000025310: D1ED0073 00D6F97D
	v_perm_b32 v115, v126, v115, s54                           // 000000025318: D1ED0073 00DAE77E
	v_perm_b32 v115, v127, v115, s55                           // 000000025320: D1ED0073 00DEE77F
	ds_write_b32 v10, v112 offset:25088                        // 000000025328: D81A6200 0000700A
	ds_write_b32 v10, v113 offset:26112                        // 000000025330: D81A6600 0000710A
	ds_write_b32 v10, v114 offset:27136                        // 000000025338: D81A6A00 0000720A
	ds_write_b32 v10, v115 offset:28160                        // 000000025340: D81A6E00 0000730A
	v_add_f32_e32 v208, v208, v176                             // 000000025348: 03A161D0
	v_add_f32_e32 v209, v209, v177                             // 00000002534C: 03A363D1
	v_add_f32_e32 v210, v210, v178                             // 000000025350: 03A565D2
	v_add_f32_e32 v211, v211, v179                             // 000000025354: 03A767D3
	v_add_f32_e32 v212, v212, v180                             // 000000025358: 03A969D4
	v_add_f32_e32 v213, v213, v181                             // 00000002535C: 03AB6BD5
	v_add_f32_e32 v214, v214, v182                             // 000000025360: 03AD6DD6
	v_add_f32_e32 v215, v215, v183                             // 000000025364: 03AF6FD7
	v_rcp_f32_e32 v44, v48                                     // 000000025368: 7E584530
	s_waitcnt lgkmcnt(0)                                       // 00000002536C: BF8CC07F
	s_barrier                                                  // 000000025370: BF8A0000
	ds_read_b64 v[112:113], v9 offset:25088                    // 000000025374: D8EC6200 70000009
	ds_read_b64 v[114:115], v9 offset:25216                    // 00000002537C: D8EC6280 72000009
	ds_read_b64 v[116:117], v9 offset:26112                    // 000000025384: D8EC6600 74000009
	ds_read_b64 v[118:119], v9 offset:26240                    // 00000002538C: D8EC6680 76000009
	ds_read_b64 v[120:121], v9 offset:27136                    // 000000025394: D8EC6A00 78000009
	ds_read_b64 v[122:123], v9 offset:27264                    // 00000002539C: D8EC6A80 7A000009
	ds_read_b64 v[124:125], v9 offset:28160                    // 0000000253A4: D8EC6E00 7C000009
	ds_read_b64 v[126:127], v9 offset:28288                    // 0000000253AC: D8EC6E80 7E000009
	v_mov_b32_dpp v64, v42 row_shr:4 row_mask:0xf bank_mask:0xf// 0000000253B4: 7E8002FA FF01142A
	v_mov_b32_dpp v65, v42 row_shl:4 row_mask:0xf bank_mask:0xf// 0000000253BC: 7E8202FA FF01042A
	v_cndmask_b32_e64 v248, v42, v64, s[44:45]                 // 0000000253C4: D10000F8 00B2812A
	v_cndmask_b32_e64 v249, v65, v42, s[44:45]                 // 0000000253CC: D10000F9 00B25541
	v_mov_b32_dpp v64, v248 row_shr:8 row_mask:0xf bank_mask:0xf// 0000000253D4: 7E8002FA FF0118F8
	v_mov_b32_dpp v65, v248 row_shl:8 row_mask:0xf bank_mask:0xf// 0000000253DC: 7E8202FA FF0108F8
	v_mov_b32_dpp v66, v249 row_shr:8 row_mask:0xf bank_mask:0xf// 0000000253E4: 7E8402FA FF0118F9
	v_mov_b32_dpp v67, v249 row_shl:8 row_mask:0xf bank_mask:0xf// 0000000253EC: 7E8602FA FF0108F9
	v_mov_b32_e32 v68, v248                                    // 0000000253F4: 7E8803F8
	v_mov_b32_e32 v69, v249                                    // 0000000253F8: 7E8A03F9
	v_cndmask_b32_e64 v248, v68, v64, s[42:43]                 // 0000000253FC: D10000F8 00AA8144
	v_cndmask_b32_e64 v250, v68, v65, s[78:79]                 // 000000025404: D10000FA 013A8344
	v_cndmask_b32_e64 v249, v69, v66, s[42:43]                 // 00000002540C: D10000F9 00AA8545
	v_cndmask_b32_e64 v251, v69, v67, s[78:79]                 // 000000025414: D10000FB 013A8745
	v_mov_b32_dpp v64, v57 row_shr:4 row_mask:0xf bank_mask:0xf// 00000002541C: 7E8002FA FF011439
	v_mov_b32_dpp v65, v57 row_shl:4 row_mask:0xf bank_mask:0xf// 000000025424: 7E8202FA FF010439
	v_cndmask_b32_e64 v252, v57, v64, s[44:45]                 // 00000002542C: D10000FC 00B28139
	v_cndmask_b32_e64 v253, v65, v57, s[44:45]                 // 000000025434: D10000FD 00B27341
	v_mov_b32_dpp v64, v252 row_shr:8 row_mask:0xf bank_mask:0xf// 00000002543C: 7E8002FA FF0118FC
	v_mov_b32_dpp v65, v252 row_shl:8 row_mask:0xf bank_mask:0xf// 000000025444: 7E8202FA FF0108FC
	v_mov_b32_dpp v66, v253 row_shr:8 row_mask:0xf bank_mask:0xf// 00000002544C: 7E8402FA FF0118FD
	v_mov_b32_dpp v67, v253 row_shl:8 row_mask:0xf bank_mask:0xf// 000000025454: 7E8602FA FF0108FD
	v_mov_b32_e32 v68, v252                                    // 00000002545C: 7E8803FC
	v_mov_b32_e32 v69, v253                                    // 000000025460: 7E8A03FD
	v_cndmask_b32_e64 v252, v68, v64, s[42:43]                 // 000000025464: D10000FC 00AA8144
	v_cndmask_b32_e64 v254, v68, v65, s[78:79]                 // 00000002546C: D10000FE 013A8344
	v_cndmask_b32_e64 v253, v69, v66, s[42:43]                 // 000000025474: D10000FD 00AA8545
	v_cndmask_b32_e64 v255, v69, v67, s[78:79]                 // 00000002547C: D10000FF 013A8745
	v_cvt_f32_i32_e32 v128, v128                               // 000000025484: 7F000B80
	v_cvt_f32_i32_e32 v129, v129                               // 000000025488: 7F020B81
	v_cvt_f32_i32_e32 v130, v130                               // 00000002548C: 7F040B82
	v_cvt_f32_i32_e32 v131, v131                               // 000000025490: 7F060B83
	v_cvt_f32_i32_e32 v132, v132                               // 000000025494: 7F080B84
	v_cvt_f32_i32_e32 v133, v133                               // 000000025498: 7F0A0B85
	v_cvt_f32_i32_e32 v134, v134                               // 00000002549C: 7F0C0B86
	v_cvt_f32_i32_e32 v135, v135                               // 0000000254A0: 7F0E0B87
	v_cvt_f32_i32_e32 v136, v136                               // 0000000254A4: 7F100B88
	v_cvt_f32_i32_e32 v137, v137                               // 0000000254A8: 7F120B89
	v_cvt_f32_i32_e32 v138, v138                               // 0000000254AC: 7F140B8A
	v_cvt_f32_i32_e32 v139, v139                               // 0000000254B0: 7F160B8B
	v_cvt_f32_i32_e32 v140, v140                               // 0000000254B4: 7F180B8C
	v_cvt_f32_i32_e32 v141, v141                               // 0000000254B8: 7F1A0B8D
	v_cvt_f32_i32_e32 v142, v142                               // 0000000254BC: 7F1C0B8E
	v_cvt_f32_i32_e32 v143, v143                               // 0000000254C0: 7F1E0B8F
	v_mul_f32_e32 v128, v19, v128                              // 0000000254C4: 0B010113
	v_mul_f32_e32 v129, v19, v129                              // 0000000254C8: 0B030313
	v_mul_f32_e32 v130, v19, v130                              // 0000000254CC: 0B050513
	v_mul_f32_e32 v131, v19, v131                              // 0000000254D0: 0B070713
	v_mul_f32_e32 v132, v19, v132                              // 0000000254D4: 0B090913
	v_mul_f32_e32 v133, v19, v133                              // 0000000254D8: 0B0B0B13
	v_mul_f32_e32 v134, v19, v134                              // 0000000254DC: 0B0D0D13
	v_mul_f32_e32 v135, v19, v135                              // 0000000254E0: 0B0F0F13
	v_mul_f32_e32 v136, v19, v136                              // 0000000254E4: 0B111113
	v_mul_f32_e32 v137, v19, v137                              // 0000000254E8: 0B131313
	v_mul_f32_e32 v138, v19, v138                              // 0000000254EC: 0B151513
	v_mul_f32_e32 v139, v19, v139                              // 0000000254F0: 0B171713
	v_mul_f32_e32 v140, v19, v140                              // 0000000254F4: 0B191913
	v_mul_f32_e32 v141, v19, v141                              // 0000000254F8: 0B1B1B13
	v_mul_f32_e32 v142, v19, v142                              // 0000000254FC: 0B1D1D13
	v_mul_f32_e32 v143, v19, v143                              // 000000025500: 0B1F1F13
	v_mul_f32_dpp v128, v248, v128 quad_perm:[0,0,0,0] row_mask:0xf bank_mask:0xf// 000000025504: 0B0100FA FF0000F8
	v_mul_f32_dpp v129, v248, v129 quad_perm:[1,1,1,1] row_mask:0xf bank_mask:0xf// 00000002550C: 0B0302FA FF0055F8
	v_mul_f32_dpp v130, v248, v130 quad_perm:[2,2,2,2] row_mask:0xf bank_mask:0xf// 000000025514: 0B0504FA FF00AAF8
	v_mul_f32_dpp v131, v248, v131 quad_perm:[3,3,3,3] row_mask:0xf bank_mask:0xf// 00000002551C: 0B0706FA FF00FFF8
	v_mul_f32_dpp v132, v249, v132 quad_perm:[0,0,0,0] row_mask:0xf bank_mask:0xf// 000000025524: 0B0908FA FF0000F9
	v_mul_f32_dpp v133, v249, v133 quad_perm:[1,1,1,1] row_mask:0xf bank_mask:0xf// 00000002552C: 0B0B0AFA FF0055F9
	v_mul_f32_dpp v134, v249, v134 quad_perm:[2,2,2,2] row_mask:0xf bank_mask:0xf// 000000025534: 0B0D0CFA FF00AAF9
	v_mul_f32_dpp v135, v249, v135 quad_perm:[3,3,3,3] row_mask:0xf bank_mask:0xf// 00000002553C: 0B0F0EFA FF00FFF9
	v_mul_f32_dpp v136, v250, v136 quad_perm:[0,0,0,0] row_mask:0xf bank_mask:0xf// 000000025544: 0B1110FA FF0000FA
	v_mul_f32_dpp v137, v250, v137 quad_perm:[1,1,1,1] row_mask:0xf bank_mask:0xf// 00000002554C: 0B1312FA FF0055FA
	v_mul_f32_dpp v138, v250, v138 quad_perm:[2,2,2,2] row_mask:0xf bank_mask:0xf// 000000025554: 0B1514FA FF00AAFA
	v_mul_f32_dpp v139, v250, v139 quad_perm:[3,3,3,3] row_mask:0xf bank_mask:0xf// 00000002555C: 0B1716FA FF00FFFA
	v_mul_f32_dpp v140, v251, v140 quad_perm:[0,0,0,0] row_mask:0xf bank_mask:0xf// 000000025564: 0B1918FA FF0000FB
	v_mul_f32_dpp v141, v251, v141 quad_perm:[1,1,1,1] row_mask:0xf bank_mask:0xf// 00000002556C: 0B1B1AFA FF0055FB
	v_mul_f32_dpp v142, v251, v142 quad_perm:[2,2,2,2] row_mask:0xf bank_mask:0xf// 000000025574: 0B1D1CFA FF00AAFB
	v_mul_f32_dpp v143, v251, v143 quad_perm:[3,3,3,3] row_mask:0xf bank_mask:0xf// 00000002557C: 0B1F1EFA FF00FFFB
	s_and_b32 s60, s72, 0xff                                   // 000000025584: 863CFF48 000000FF
	v_mov_b32_e32 v65, s60                                     // 00000002558C: 7E82023C
	v_lshrrev_b32_e32 v240, 4, v0                              // 000000025590: 21E00084
	v_mul_i32_i24_e32 v240, 4, v240                            // 000000025594: 0DE1E084
	s_mul_i32 s60, s7, 16                                      // 000000025598: 923C9007
	v_add_u32_e32 v240, s60, v240                              // 00000002559C: 69E1E03C
	v_add_u32_e32 v241, 1, v240                                // 0000000255A0: 69E3E081
	v_add_u32_e32 v242, 2, v240                                // 0000000255A4: 69E5E082
	v_add_u32_e32 v243, 3, v240                                // 0000000255A8: 69E7E083
	v_mov_b32_e32 v64, 0xff800000                              // 0000000255AC: 7E8002FF FF800000
	v_cmp_lt_u32_e64 s[40:41], v240, v65                       // 0000000255B4: D0C90028 000283F0
	v_add_u32_e32 v240, 64, v240                               // 0000000255BC: 69E1E0C0
	s_nop 0                                                    // 0000000255C0: BF800000
	v_cndmask_b32_e64 v128, v64, v128, s[40:41]                // 0000000255C4: D1000080 00A30140
	v_cmp_lt_u32_e64 s[40:41], v241, v65                       // 0000000255CC: D0C90028 000283F1
	v_add_u32_e32 v241, 64, v241                               // 0000000255D4: 69E3E2C0
	s_nop 0                                                    // 0000000255D8: BF800000
	v_cndmask_b32_e64 v129, v64, v129, s[40:41]                // 0000000255DC: D1000081 00A30340
	v_cmp_lt_u32_e64 s[40:41], v242, v65                       // 0000000255E4: D0C90028 000283F2
	v_add_u32_e32 v242, 64, v242                               // 0000000255EC: 69E5E4C0
	s_nop 0                                                    // 0000000255F0: BF800000
	v_cndmask_b32_e64 v130, v64, v130, s[40:41]                // 0000000255F4: D1000082 00A30540
	v_cmp_lt_u32_e64 s[40:41], v243, v65                       // 0000000255FC: D0C90028 000283F3
	v_add_u32_e32 v243, 64, v243                               // 000000025604: 69E7E6C0
	s_nop 0                                                    // 000000025608: BF800000
	v_cndmask_b32_e64 v131, v64, v131, s[40:41]                // 00000002560C: D1000083 00A30740
	v_cmp_lt_u32_e64 s[40:41], v240, v65                       // 000000025614: D0C90028 000283F0
	v_add_u32_e32 v240, 64, v240                               // 00000002561C: 69E1E0C0
	s_nop 0                                                    // 000000025620: BF800000
	v_cndmask_b32_e64 v132, v64, v132, s[40:41]                // 000000025624: D1000084 00A30940
	v_cmp_lt_u32_e64 s[40:41], v241, v65                       // 00000002562C: D0C90028 000283F1
	v_add_u32_e32 v241, 64, v241                               // 000000025634: 69E3E2C0
	s_nop 0                                                    // 000000025638: BF800000
	v_cndmask_b32_e64 v133, v64, v133, s[40:41]                // 00000002563C: D1000085 00A30B40
	v_cmp_lt_u32_e64 s[40:41], v242, v65                       // 000000025644: D0C90028 000283F2
	v_add_u32_e32 v242, 64, v242                               // 00000002564C: 69E5E4C0
	s_nop 0                                                    // 000000025650: BF800000
	v_cndmask_b32_e64 v134, v64, v134, s[40:41]                // 000000025654: D1000086 00A30D40
	v_cmp_lt_u32_e64 s[40:41], v243, v65                       // 00000002565C: D0C90028 000283F3
	v_add_u32_e32 v243, 64, v243                               // 000000025664: 69E7E6C0
	s_nop 0                                                    // 000000025668: BF800000
	v_cndmask_b32_e64 v135, v64, v135, s[40:41]                // 00000002566C: D1000087 00A30F40
	v_cmp_lt_u32_e64 s[40:41], v240, v65                       // 000000025674: D0C90028 000283F0
	v_add_u32_e32 v240, 64, v240                               // 00000002567C: 69E1E0C0
	s_nop 0                                                    // 000000025680: BF800000
	v_cndmask_b32_e64 v136, v64, v136, s[40:41]                // 000000025684: D1000088 00A31140
	v_cmp_lt_u32_e64 s[40:41], v241, v65                       // 00000002568C: D0C90028 000283F1
	v_add_u32_e32 v241, 64, v241                               // 000000025694: 69E3E2C0
	s_nop 0                                                    // 000000025698: BF800000
	v_cndmask_b32_e64 v137, v64, v137, s[40:41]                // 00000002569C: D1000089 00A31340
	v_cmp_lt_u32_e64 s[40:41], v242, v65                       // 0000000256A4: D0C90028 000283F2
	v_add_u32_e32 v242, 64, v242                               // 0000000256AC: 69E5E4C0
	s_nop 0                                                    // 0000000256B0: BF800000
	v_cndmask_b32_e64 v138, v64, v138, s[40:41]                // 0000000256B4: D100008A 00A31540
	v_cmp_lt_u32_e64 s[40:41], v243, v65                       // 0000000256BC: D0C90028 000283F3
	v_add_u32_e32 v243, 64, v243                               // 0000000256C4: 69E7E6C0
	s_nop 0                                                    // 0000000256C8: BF800000
	v_cndmask_b32_e64 v139, v64, v139, s[40:41]                // 0000000256CC: D100008B 00A31740
	v_cmp_lt_u32_e64 s[40:41], v240, v65                       // 0000000256D4: D0C90028 000283F0
	v_add_u32_e32 v240, 64, v240                               // 0000000256DC: 69E1E0C0
	s_nop 0                                                    // 0000000256E0: BF800000
	v_cndmask_b32_e64 v140, v64, v140, s[40:41]                // 0000000256E4: D100008C 00A31940
	v_cmp_lt_u32_e64 s[40:41], v241, v65                       // 0000000256EC: D0C90028 000283F1
	v_add_u32_e32 v241, 64, v241                               // 0000000256F4: 69E3E2C0
	s_nop 0                                                    // 0000000256F8: BF800000
	v_cndmask_b32_e64 v141, v64, v141, s[40:41]                // 0000000256FC: D100008D 00A31B40
	v_cmp_lt_u32_e64 s[40:41], v242, v65                       // 000000025704: D0C90028 000283F2
	v_add_u32_e32 v242, 64, v242                               // 00000002570C: 69E5E4C0
	s_nop 0                                                    // 000000025710: BF800000
	v_cndmask_b32_e64 v142, v64, v142, s[40:41]                // 000000025714: D100008E 00A31D40
	v_cmp_lt_u32_e64 s[40:41], v243, v65                       // 00000002571C: D0C90028 000283F3
	v_add_u32_e32 v243, 64, v243                               // 000000025724: 69E7E6C0
	s_nop 0                                                    // 000000025728: BF800000
	v_cndmask_b32_e64 v143, v64, v143, s[40:41]                // 00000002572C: D100008F 00A31F40
	v_mov_b32_e32 v48, v128                                    // 000000025734: 7E600380
	v_max3_f32 v48, v128, v129, v48                            // 000000025738: D1D30030 04C30380
	v_max3_f32 v48, v130, v131, v48                            // 000000025740: D1D30030 04C30782
	v_max3_f32 v48, v132, v133, v48                            // 000000025748: D1D30030 04C30B84
	v_max3_f32 v48, v134, v135, v48                            // 000000025750: D1D30030 04C30F86
	v_max3_f32 v48, v136, v137, v48                            // 000000025758: D1D30030 04C31388
	v_max3_f32 v48, v138, v139, v48                            // 000000025760: D1D30030 04C3178A
	v_max3_f32 v48, v140, v141, v48                            // 000000025768: D1D30030 04C31B8C
	v_max3_f32 v48, v142, v143, v48                            // 000000025770: D1D30030 04C31F8E
	ds_write_b32 v8, v48 offset:16896                          // 000000025778: D81A4200 00003008
	v_mul_f32_e32 v216, v50, v216                              // 000000025780: 0BB1B132
	v_mul_f32_e32 v217, v50, v217                              // 000000025784: 0BB3B332
	v_mul_f32_e32 v218, v50, v218                              // 000000025788: 0BB5B532
	v_mul_f32_e32 v219, v50, v219                              // 00000002578C: 0BB7B732
	v_mul_f32_e32 v220, v50, v220                              // 000000025790: 0BB9B932
	v_mul_f32_e32 v221, v50, v221                              // 000000025794: 0BBBBB32
	v_mul_f32_e32 v222, v50, v222                              // 000000025798: 0BBDBD32
	v_mul_f32_e32 v223, v50, v223                              // 00000002579C: 0BBFBF32
	s_waitcnt lgkmcnt(0)                                       // 0000000257A0: BF8CC07F
	s_barrier                                                  // 0000000257A4: BF8A0000
	ds_read_b32 v64, v7 offset:16896                           // 0000000257A8: D86C4200 40000007
	ds_read_b32 v65, v7 offset:16960                           // 0000000257B0: D86C4240 41000007
	ds_read_b32 v66, v7 offset:17024                           // 0000000257B8: D86C4280 42000007
	ds_read_b32 v67, v7 offset:17088                           // 0000000257C0: D86C42C0 43000007
	ds_read_b32 v68, v7 offset:17152                           // 0000000257C8: D86C4300 44000007
	ds_read_b32 v69, v7 offset:17216                           // 0000000257D0: D86C4340 45000007
	ds_read_b32 v70, v7 offset:17280                           // 0000000257D8: D86C4380 46000007
	ds_read_b32 v71, v7 offset:17344                           // 0000000257E0: D86C43C0 47000007
	ds_read_b32 v72, v7 offset:17408                           // 0000000257E8: D86C4400 48000007
	ds_read_b32 v73, v7 offset:17472                           // 0000000257F0: D86C4440 49000007
	ds_read_b32 v74, v7 offset:17536                           // 0000000257F8: D86C4480 4A000007
	ds_read_b32 v75, v7 offset:17600                           // 000000025800: D86C44C0 4B000007
	ds_read_b32 v76, v7 offset:17664                           // 000000025808: D86C4500 4C000007
	ds_read_b32 v77, v7 offset:17728                           // 000000025810: D86C4540 4D000007
	ds_read_b32 v78, v7 offset:17792                           // 000000025818: D86C4580 4E000007
	ds_read_b32 v79, v7 offset:17856                           // 000000025820: D86C45C0 4F000007
	v_cvt_f32_i32_e32 v184, v184                               // 000000025828: 7F700BB8
	v_cvt_f32_i32_e32 v185, v185                               // 00000002582C: 7F720BB9
	v_cvt_f32_i32_e32 v186, v186                               // 000000025830: 7F740BBA
	v_cvt_f32_i32_e32 v187, v187                               // 000000025834: 7F760BBB
	v_cvt_f32_i32_e32 v188, v188                               // 000000025838: 7F780BBC
	v_cvt_f32_i32_e32 v189, v189                               // 00000002583C: 7F7A0BBD
	v_cvt_f32_i32_e32 v190, v190                               // 000000025840: 7F7C0BBE
	v_cvt_f32_i32_e32 v191, v191                               // 000000025844: 7F7E0BBF
	v_mul_f32_e32 v184, v45, v184                              // 000000025848: 0B71712D
	v_mul_f32_e32 v185, v45, v185                              // 00000002584C: 0B73732D
	v_mul_f32_e32 v186, v45, v186                              // 000000025850: 0B75752D
	v_mul_f32_e32 v187, v45, v187                              // 000000025854: 0B77772D
	v_mul_f32_e32 v188, v45, v188                              // 000000025858: 0B79792D
	v_mul_f32_e32 v189, v45, v189                              // 00000002585C: 0B7B7B2D
	v_mul_f32_e32 v190, v45, v190                              // 000000025860: 0B7D7D2D
	v_mul_f32_e32 v191, v45, v191                              // 000000025864: 0B7F7F2D
	s_waitcnt lgkmcnt(0)                                       // 000000025868: BF8CC07F
	v_max3_f32 v48, v64, v65, v48                              // 00000002586C: D1D30030 04C28340
	v_max3_f32 v48, v66, v67, v48                              // 000000025874: D1D30030 04C28742
	v_max3_f32 v48, v68, v69, v48                              // 00000002587C: D1D30030 04C28B44
	v_max3_f32 v48, v70, v71, v48                              // 000000025884: D1D30030 04C28F46
	v_max3_f32 v48, v72, v73, v48                              // 00000002588C: D1D30030 04C29348
	v_max3_f32 v48, v74, v75, v48                              // 000000025894: D1D30030 04C2974A
	v_max3_f32 v48, v76, v77, v48                              // 00000002589C: D1D30030 04C29B4C
	v_max3_f32 v48, v78, v79, v48                              // 0000000258A4: D1D30030 04C29F4E
	v_mov_b32_e32 v64, 0xff800000                              // 0000000258AC: 7E8002FF FF800000
	v_cmp_eq_u32_e64 s[40:41], v64, v12                        // 0000000258B4: D0CA0028 00021940
	s_nop 1                                                    // 0000000258BC: BF800001
	v_max_f32_e32 v15, v48, v12                                // 0000000258C0: 161E1930
	v_mul_f32_e32 v53, s64, v15                                // 0000000258C4: 0A6A1E40
	v_fma_f32 v128, v128, s64, -v53                            // 0000000258C8: D1CB0080 84D48180
	v_fma_f32 v129, v129, s64, -v53                            // 0000000258D0: D1CB0081 84D48181
	v_fma_f32 v130, v130, s64, -v53                            // 0000000258D8: D1CB0082 84D48182
	v_fma_f32 v131, v131, s64, -v53                            // 0000000258E0: D1CB0083 84D48183
	v_fma_f32 v132, v132, s64, -v53                            // 0000000258E8: D1CB0084 84D48184
	v_fma_f32 v133, v133, s64, -v53                            // 0000000258F0: D1CB0085 84D48185
	v_fma_f32 v134, v134, s64, -v53                            // 0000000258F8: D1CB0086 84D48186
	v_fma_f32 v135, v135, s64, -v53                            // 000000025900: D1CB0087 84D48187
	v_fma_f32 v136, v136, s64, -v53                            // 000000025908: D1CB0088 84D48188
	v_fma_f32 v137, v137, s64, -v53                            // 000000025910: D1CB0089 84D48189
	v_fma_f32 v138, v138, s64, -v53                            // 000000025918: D1CB008A 84D4818A
	v_fma_f32 v139, v139, s64, -v53                            // 000000025920: D1CB008B 84D4818B
	v_fma_f32 v140, v140, s64, -v53                            // 000000025928: D1CB008C 84D4818C
	v_fma_f32 v141, v141, s64, -v53                            // 000000025930: D1CB008D 84D4818D
	v_fma_f32 v142, v142, s64, -v53                            // 000000025938: D1CB008E 84D4818E
	v_fma_f32 v143, v143, s64, -v53                            // 000000025940: D1CB008F 84D4818F
	v_exp_f32_e32 v128, v128                                   // 000000025948: 7F004180
	v_exp_f32_e32 v129, v129                                   // 00000002594C: 7F024181
	v_exp_f32_e32 v130, v130                                   // 000000025950: 7F044182
	v_exp_f32_e32 v131, v131                                   // 000000025954: 7F064183
	v_exp_f32_e32 v132, v132                                   // 000000025958: 7F084184
	v_exp_f32_e32 v133, v133                                   // 00000002595C: 7F0A4185
	v_exp_f32_e32 v134, v134                                   // 000000025960: 7F0C4186
	v_exp_f32_e32 v135, v135                                   // 000000025964: 7F0E4187
	v_exp_f32_e32 v136, v136                                   // 000000025968: 7F104188
	v_exp_f32_e32 v137, v137                                   // 00000002596C: 7F124189
	v_exp_f32_e32 v138, v138                                   // 000000025970: 7F14418A
	v_exp_f32_e32 v139, v139                                   // 000000025974: 7F16418B
	v_exp_f32_e32 v140, v140                                   // 000000025978: 7F18418C
	v_exp_f32_e32 v141, v141                                   // 00000002597C: 7F1A418D
	v_exp_f32_e32 v142, v142                                   // 000000025980: 7F1C418E
	v_exp_f32_e32 v143, v143                                   // 000000025984: 7F1E418F
	v_mul_f32_dpp v240, v252, v128 quad_perm:[0,0,0,0] row_mask:0xf bank_mask:0xf// 000000025988: 0BE100FA FF0000FC
	v_mul_f32_dpp v241, v252, v129 quad_perm:[1,1,1,1] row_mask:0xf bank_mask:0xf// 000000025990: 0BE302FA FF0055FC
	v_mul_f32_dpp v242, v252, v130 quad_perm:[2,2,2,2] row_mask:0xf bank_mask:0xf// 000000025998: 0BE504FA FF00AAFC
	v_mul_f32_dpp v243, v252, v131 quad_perm:[3,3,3,3] row_mask:0xf bank_mask:0xf// 0000000259A0: 0BE706FA FF00FFFC
	v_mul_f32_dpp v244, v253, v132 quad_perm:[0,0,0,0] row_mask:0xf bank_mask:0xf// 0000000259A8: 0BE908FA FF0000FD
	v_mul_f32_dpp v245, v253, v133 quad_perm:[1,1,1,1] row_mask:0xf bank_mask:0xf// 0000000259B0: 0BEB0AFA FF0055FD
	v_mul_f32_dpp v246, v253, v134 quad_perm:[2,2,2,2] row_mask:0xf bank_mask:0xf// 0000000259B8: 0BED0CFA FF00AAFD
	v_mul_f32_dpp v247, v253, v135 quad_perm:[3,3,3,3] row_mask:0xf bank_mask:0xf// 0000000259C0: 0BEF0EFA FF00FFFD
	v_mul_f32_dpp v248, v254, v136 quad_perm:[0,0,0,0] row_mask:0xf bank_mask:0xf// 0000000259C8: 0BF110FA FF0000FE
	v_mul_f32_dpp v249, v254, v137 quad_perm:[1,1,1,1] row_mask:0xf bank_mask:0xf// 0000000259D0: 0BF312FA FF0055FE
	v_mul_f32_dpp v250, v254, v138 quad_perm:[2,2,2,2] row_mask:0xf bank_mask:0xf// 0000000259D8: 0BF514FA FF00AAFE
	v_mul_f32_dpp v251, v254, v139 quad_perm:[3,3,3,3] row_mask:0xf bank_mask:0xf// 0000000259E0: 0BF716FA FF00FFFE
	v_mul_f32_dpp v252, v255, v140 quad_perm:[0,0,0,0] row_mask:0xf bank_mask:0xf// 0000000259E8: 0BF918FA FF0000FF
	v_mul_f32_dpp v253, v255, v141 quad_perm:[1,1,1,1] row_mask:0xf bank_mask:0xf// 0000000259F0: 0BFB1AFA FF0055FF
	v_mul_f32_dpp v254, v255, v142 quad_perm:[2,2,2,2] row_mask:0xf bank_mask:0xf// 0000000259F8: 0BFD1CFA FF00AAFF
	v_mul_f32_dpp v255, v255, v143 quad_perm:[3,3,3,3] row_mask:0xf bank_mask:0xf// 000000025A00: 0BFF1EFA FF00FFFF
	v_mov_b32_e32 v48, 0x358637bd                              // 000000025A08: 7E6002FF 358637BD
	v_max3_f32 v48, |v240|, |v241|, v48                        // 000000025A10: D1D30330 04C3E3F0
	v_max3_f32 v48, |v242|, |v243|, v48                        // 000000025A18: D1D30330 04C3E7F2
	v_max3_f32 v48, |v244|, |v245|, v48                        // 000000025A20: D1D30330 04C3EBF4
	v_max3_f32 v48, |v246|, |v247|, v48                        // 000000025A28: D1D30330 04C3EFF6
	v_max3_f32 v48, |v248|, |v249|, v48                        // 000000025A30: D1D30330 04C3F3F8
	v_max3_f32 v48, |v250|, |v251|, v48                        // 000000025A38: D1D30330 04C3F7FA
	v_max3_f32 v48, |v252|, |v253|, v48                        // 000000025A40: D1D30330 04C3FBFC
	v_max3_f32 v48, |v254|, |v255|, v48                        // 000000025A48: D1D30330 04C3FFFE
	ds_write_b32 v8, v48 offset:20992                          // 000000025A50: D81A5200 00003008
	v_sub_f32_e32 v50, v12, v15                                // 000000025A58: 04641F0C
	v_cndmask_b32_e64 v50, v50, 0, s[40:41]                    // 000000025A5C: D1000032 00A10132
	v_mov_b32_e32 v12, v15                                     // 000000025A64: 7E18030F
	v_mul_f32_e32 v50, s64, v50                                // 000000025A68: 0A646440
	v_exp_f32_e32 v50, v50                                     // 000000025A6C: 7E644132
	s_waitcnt lgkmcnt(0)                                       // 000000025A70: BF8CC07F
	s_barrier                                                  // 000000025A74: BF8A0000
	ds_read_b32 v64, v7 offset:20992                           // 000000025A78: D86C5200 40000007
	ds_read_b32 v65, v7 offset:21056                           // 000000025A80: D86C5240 41000007
	ds_read_b32 v66, v7 offset:21120                           // 000000025A88: D86C5280 42000007
	ds_read_b32 v67, v7 offset:21184                           // 000000025A90: D86C52C0 43000007
	ds_read_b32 v68, v7 offset:21248                           // 000000025A98: D86C5300 44000007
	ds_read_b32 v69, v7 offset:21312                           // 000000025AA0: D86C5340 45000007
	ds_read_b32 v70, v7 offset:21376                           // 000000025AA8: D86C5380 46000007
	ds_read_b32 v71, v7 offset:21440                           // 000000025AB0: D86C53C0 47000007
	ds_read_b32 v72, v7 offset:21504                           // 000000025AB8: D86C5400 48000007
	ds_read_b32 v73, v7 offset:21568                           // 000000025AC0: D86C5440 49000007
	ds_read_b32 v74, v7 offset:21632                           // 000000025AC8: D86C5480 4A000007
	ds_read_b32 v75, v7 offset:21696                           // 000000025AD0: D86C54C0 4B000007
	ds_read_b32 v76, v7 offset:21760                           // 000000025AD8: D86C5500 4C000007
	ds_read_b32 v77, v7 offset:21824                           // 000000025AE0: D86C5540 4D000007
	ds_read_b32 v78, v7 offset:21888                           // 000000025AE8: D86C5580 4E000007
	ds_read_b32 v79, v7 offset:21952                           // 000000025AF0: D86C55C0 4F000007
	v_mul_f32_e32 v39, v50, v39                                // 000000025AF8: 0A4E4F32
	v_mov_b32_e32 v15, v128                                    // 000000025AFC: 7E1E0380
	v_add_f32_e32 v15, v129, v15                               // 000000025B00: 021E1F81
	v_add_f32_e32 v15, v130, v15                               // 000000025B04: 021E1F82
	v_add_f32_e32 v15, v131, v15                               // 000000025B08: 021E1F83
	v_add_f32_e32 v15, v132, v15                               // 000000025B0C: 021E1F84
	v_add_f32_e32 v15, v133, v15                               // 000000025B10: 021E1F85
	v_add_f32_e32 v15, v134, v15                               // 000000025B14: 021E1F86
	v_add_f32_e32 v15, v135, v15                               // 000000025B18: 021E1F87
	v_add_f32_e32 v15, v136, v15                               // 000000025B1C: 021E1F88
	v_add_f32_e32 v15, v137, v15                               // 000000025B20: 021E1F89
	v_add_f32_e32 v15, v138, v15                               // 000000025B24: 021E1F8A
	v_add_f32_e32 v15, v139, v15                               // 000000025B28: 021E1F8B
	v_add_f32_e32 v15, v140, v15                               // 000000025B2C: 021E1F8C
	v_add_f32_e32 v15, v141, v15                               // 000000025B30: 021E1F8D
	v_add_f32_e32 v15, v142, v15                               // 000000025B34: 021E1F8E
	v_add_f32_e32 v15, v143, v15                               // 000000025B38: 021E1F8F
	v_add_f32_e32 v39, v15, v39                                // 000000025B3C: 024E4F0F
	s_waitcnt lgkmcnt(0)                                       // 000000025B40: BF8CC07F
	v_max3_f32 v48, |v64|, |v65|, v48                          // 000000025B44: D1D30330 04C28340
	v_max3_f32 v48, |v66|, |v67|, v48                          // 000000025B4C: D1D30330 04C28742
	v_max3_f32 v48, |v68|, |v69|, v48                          // 000000025B54: D1D30330 04C28B44
	v_max3_f32 v48, |v70|, |v71|, v48                          // 000000025B5C: D1D30330 04C28F46
	v_max3_f32 v48, |v72|, |v73|, v48                          // 000000025B64: D1D30330 04C29348
	v_max3_f32 v48, |v74|, |v75|, v48                          // 000000025B6C: D1D30330 04C2974A
	v_max3_f32 v48, |v76|, |v77|, v48                          // 000000025B74: D1D30330 04C29B4C
	v_max3_f32 v48, |v78|, |v79|, v48                          // 000000025B7C: D1D30330 04C29F4E
	s_nop 2                                                    // 000000025B84: BF800002
	v_rcp_f32_e32 v48, v48                                     // 000000025B88: 7E604530
	s_nop 1                                                    // 000000025B8C: BF800001
	v_mul_f32_e32 v48, 0x42fe0000, v48                         // 000000025B90: 0A6060FF 42FE0000
	v_mul_f32_e32 v128, v48, v240                              // 000000025B98: 0B01E130
	v_mul_f32_e32 v129, v48, v241                              // 000000025B9C: 0B03E330
	v_mul_f32_e32 v130, v48, v242                              // 000000025BA0: 0B05E530
	v_mul_f32_e32 v131, v48, v243                              // 000000025BA4: 0B07E730
	v_mul_f32_e32 v132, v48, v244                              // 000000025BA8: 0B09E930
	v_mul_f32_e32 v133, v48, v245                              // 000000025BAC: 0B0BEB30
	v_mul_f32_e32 v134, v48, v246                              // 000000025BB0: 0B0DED30
	v_mul_f32_e32 v135, v48, v247                              // 000000025BB4: 0B0FEF30
	v_mul_f32_e32 v136, v48, v248                              // 000000025BB8: 0B11F130
	v_mul_f32_e32 v137, v48, v249                              // 000000025BBC: 0B13F330
	v_mul_f32_e32 v138, v48, v250                              // 000000025BC0: 0B15F530
	v_mul_f32_e32 v139, v48, v251                              // 000000025BC4: 0B17F730
	v_mul_f32_e32 v140, v48, v252                              // 000000025BC8: 0B19F930
	v_mul_f32_e32 v141, v48, v253                              // 000000025BCC: 0B1BFB30
	v_mul_f32_e32 v142, v48, v254                              // 000000025BD0: 0B1DFD30
	v_mul_f32_e32 v143, v48, v255                              // 000000025BD4: 0B1FFF30
	v_cvt_i32_f32_e32 v128, v128                               // 000000025BD8: 7F001180
	v_cvt_i32_f32_e32 v129, v129                               // 000000025BDC: 7F021181
	v_cvt_i32_f32_e32 v130, v130                               // 000000025BE0: 7F041182
	v_cvt_i32_f32_e32 v131, v131                               // 000000025BE4: 7F061183
	v_cvt_i32_f32_e32 v132, v132                               // 000000025BE8: 7F081184
	v_cvt_i32_f32_e32 v133, v133                               // 000000025BEC: 7F0A1185
	v_cvt_i32_f32_e32 v134, v134                               // 000000025BF0: 7F0C1186
	v_cvt_i32_f32_e32 v135, v135                               // 000000025BF4: 7F0E1187
	v_cvt_i32_f32_e32 v136, v136                               // 000000025BF8: 7F101188
	v_cvt_i32_f32_e32 v137, v137                               // 000000025BFC: 7F121189
	v_cvt_i32_f32_e32 v138, v138                               // 000000025C00: 7F14118A
	v_cvt_i32_f32_e32 v139, v139                               // 000000025C04: 7F16118B
	v_cvt_i32_f32_e32 v140, v140                               // 000000025C08: 7F18118C
	v_cvt_i32_f32_e32 v141, v141                               // 000000025C0C: 7F1A118D
	v_cvt_i32_f32_e32 v142, v142                               // 000000025C10: 7F1C118E
	v_cvt_i32_f32_e32 v143, v143                               // 000000025C14: 7F1E118F
	v_perm_b32 v128, v129, v128, s53                           // 000000025C18: D1ED0080 00D70181
	v_perm_b32 v128, v130, v128, s54                           // 000000025C20: D1ED0080 00DB0182
	v_perm_b32 v128, v131, v128, s55                           // 000000025C28: D1ED0080 00DF0183
	v_perm_b32 v129, v133, v132, s53                           // 000000025C30: D1ED0081 00D70985
	v_perm_b32 v129, v134, v129, s54                           // 000000025C38: D1ED0081 00DB0386
	v_perm_b32 v129, v135, v129, s55                           // 000000025C40: D1ED0081 00DF0387
	v_perm_b32 v130, v137, v136, s53                           // 000000025C48: D1ED0082 00D71189
	v_perm_b32 v130, v138, v130, s54                           // 000000025C50: D1ED0082 00DB058A
	v_perm_b32 v130, v139, v130, s55                           // 000000025C58: D1ED0082 00DF058B
	v_perm_b32 v131, v141, v140, s53                           // 000000025C60: D1ED0083 00D7198D
	v_perm_b32 v131, v142, v131, s54                           // 000000025C68: D1ED0083 00DB078E
	v_perm_b32 v131, v143, v131, s55                           // 000000025C70: D1ED0083 00DF078F
	ds_write_b32 v10, v128 offset:29184                        // 000000025C78: D81A7200 0000800A
	ds_write_b32 v10, v129 offset:30208                        // 000000025C80: D81A7600 0000810A
	ds_write_b32 v10, v130 offset:31232                        // 000000025C88: D81A7A00 0000820A
	ds_write_b32 v10, v131 offset:32256                        // 000000025C90: D81A7E00 0000830A
	v_add_f32_e32 v216, v216, v184                             // 000000025C98: 03B171D8
	v_add_f32_e32 v217, v217, v185                             // 000000025C9C: 03B373D9
	v_add_f32_e32 v218, v218, v186                             // 000000025CA0: 03B575DA
	v_add_f32_e32 v219, v219, v187                             // 000000025CA4: 03B777DB
	v_add_f32_e32 v220, v220, v188                             // 000000025CA8: 03B979DC
	v_add_f32_e32 v221, v221, v189                             // 000000025CAC: 03BB7BDD
	v_add_f32_e32 v222, v222, v190                             // 000000025CB0: 03BD7DDE
	v_add_f32_e32 v223, v223, v191                             // 000000025CB4: 03BF7FDF
	v_rcp_f32_e32 v45, v48                                     // 000000025CB8: 7E5A4530
	s_waitcnt lgkmcnt(0)                                       // 000000025CBC: BF8CC07F
	s_barrier                                                  // 000000025CC0: BF8A0000
	ds_read_b64 v[128:129], v9 offset:29184                    // 000000025CC4: D8EC7200 80000009
	ds_read_b64 v[130:131], v9 offset:29312                    // 000000025CCC: D8EC7280 82000009
	ds_read_b64 v[132:133], v9 offset:30208                    // 000000025CD4: D8EC7600 84000009
	ds_read_b64 v[134:135], v9 offset:30336                    // 000000025CDC: D8EC7680 86000009
	ds_read_b64 v[136:137], v9 offset:31232                    // 000000025CE4: D8EC7A00 88000009
	ds_read_b64 v[138:139], v9 offset:31360                    // 000000025CEC: D8EC7A80 8A000009
	ds_read_b64 v[140:141], v9 offset:32256                    // 000000025CF4: D8EC7E00 8C000009
	ds_read_b64 v[142:143], v9 offset:32384                    // 000000025CFC: D8EC7E80 8E000009
	v_mov_b32_dpp v64, v42 row_shr:4 row_mask:0xf bank_mask:0xf// 000000025D04: 7E8002FA FF01142A
	v_mov_b32_dpp v65, v42 row_shl:4 row_mask:0xf bank_mask:0xf// 000000025D0C: 7E8202FA FF01042A
	v_cndmask_b32_e64 v248, v42, v64, s[44:45]                 // 000000025D14: D10000F8 00B2812A
	v_cndmask_b32_e64 v249, v65, v42, s[44:45]                 // 000000025D1C: D10000F9 00B25541
	v_mov_b32_dpp v64, v248 row_shr:8 row_mask:0xf bank_mask:0xf// 000000025D24: 7E8002FA FF0118F8
	v_mov_b32_dpp v65, v248 row_shl:8 row_mask:0xf bank_mask:0xf// 000000025D2C: 7E8202FA FF0108F8
	v_mov_b32_dpp v66, v249 row_shr:8 row_mask:0xf bank_mask:0xf// 000000025D34: 7E8402FA FF0118F9
	v_mov_b32_dpp v67, v249 row_shl:8 row_mask:0xf bank_mask:0xf// 000000025D3C: 7E8602FA FF0108F9
	v_mov_b32_e32 v68, v248                                    // 000000025D44: 7E8803F8
	v_mov_b32_e32 v69, v249                                    // 000000025D48: 7E8A03F9
	v_cndmask_b32_e64 v248, v68, v64, s[42:43]                 // 000000025D4C: D10000F8 00AA8144
	v_cndmask_b32_e64 v250, v68, v65, s[78:79]                 // 000000025D54: D10000FA 013A8344
	v_cndmask_b32_e64 v249, v69, v66, s[42:43]                 // 000000025D5C: D10000F9 00AA8545
	v_cndmask_b32_e64 v251, v69, v67, s[78:79]                 // 000000025D64: D10000FB 013A8745
	v_mov_b32_dpp v64, v57 row_shr:4 row_mask:0xf bank_mask:0xf// 000000025D6C: 7E8002FA FF011439
	v_mov_b32_dpp v65, v57 row_shl:4 row_mask:0xf bank_mask:0xf// 000000025D74: 7E8202FA FF010439
	v_cndmask_b32_e64 v252, v57, v64, s[44:45]                 // 000000025D7C: D10000FC 00B28139
	v_cndmask_b32_e64 v253, v65, v57, s[44:45]                 // 000000025D84: D10000FD 00B27341
	v_mov_b32_dpp v64, v252 row_shr:8 row_mask:0xf bank_mask:0xf// 000000025D8C: 7E8002FA FF0118FC
	v_mov_b32_dpp v65, v252 row_shl:8 row_mask:0xf bank_mask:0xf// 000000025D94: 7E8202FA FF0108FC
	v_mov_b32_dpp v66, v253 row_shr:8 row_mask:0xf bank_mask:0xf// 000000025D9C: 7E8402FA FF0118FD
	v_mov_b32_dpp v67, v253 row_shl:8 row_mask:0xf bank_mask:0xf// 000000025DA4: 7E8602FA FF0108FD
	v_mov_b32_e32 v68, v252                                    // 000000025DAC: 7E8803FC
	v_mov_b32_e32 v69, v253                                    // 000000025DB0: 7E8A03FD
	v_cndmask_b32_e64 v252, v68, v64, s[42:43]                 // 000000025DB4: D10000FC 00AA8144
	v_cndmask_b32_e64 v254, v68, v65, s[78:79]                 // 000000025DBC: D10000FE 013A8344
	v_cndmask_b32_e64 v253, v69, v66, s[42:43]                 // 000000025DC4: D10000FD 00AA8545
	v_cndmask_b32_e64 v255, v69, v67, s[78:79]                 // 000000025DCC: D10000FF 013A8745
	v_cvt_f32_i32_e32 v144, v144                               // 000000025DD4: 7F200B90
	v_cvt_f32_i32_e32 v145, v145                               // 000000025DD8: 7F220B91
	v_cvt_f32_i32_e32 v146, v146                               // 000000025DDC: 7F240B92
	v_cvt_f32_i32_e32 v147, v147                               // 000000025DE0: 7F260B93
	v_cvt_f32_i32_e32 v148, v148                               // 000000025DE4: 7F280B94
	v_cvt_f32_i32_e32 v149, v149                               // 000000025DE8: 7F2A0B95
	v_cvt_f32_i32_e32 v150, v150                               // 000000025DEC: 7F2C0B96
	v_cvt_f32_i32_e32 v151, v151                               // 000000025DF0: 7F2E0B97
	v_cvt_f32_i32_e32 v152, v152                               // 000000025DF4: 7F300B98
	v_cvt_f32_i32_e32 v153, v153                               // 000000025DF8: 7F320B99
	v_cvt_f32_i32_e32 v154, v154                               // 000000025DFC: 7F340B9A
	v_cvt_f32_i32_e32 v155, v155                               // 000000025E00: 7F360B9B
	v_cvt_f32_i32_e32 v156, v156                               // 000000025E04: 7F380B9C
	v_cvt_f32_i32_e32 v157, v157                               // 000000025E08: 7F3A0B9D
	v_cvt_f32_i32_e32 v158, v158                               // 000000025E0C: 7F3C0B9E
	v_cvt_f32_i32_e32 v159, v159                               // 000000025E10: 7F3E0B9F
	v_mul_f32_e32 v144, v20, v144                              // 000000025E14: 0B212114
	v_mul_f32_e32 v145, v20, v145                              // 000000025E18: 0B232314
	v_mul_f32_e32 v146, v20, v146                              // 000000025E1C: 0B252514
	v_mul_f32_e32 v147, v20, v147                              // 000000025E20: 0B272714
	v_mul_f32_e32 v148, v20, v148                              // 000000025E24: 0B292914
	v_mul_f32_e32 v149, v20, v149                              // 000000025E28: 0B2B2B14
	v_mul_f32_e32 v150, v20, v150                              // 000000025E2C: 0B2D2D14
	v_mul_f32_e32 v151, v20, v151                              // 000000025E30: 0B2F2F14
	v_mul_f32_e32 v152, v20, v152                              // 000000025E34: 0B313114
	v_mul_f32_e32 v153, v20, v153                              // 000000025E38: 0B333314
	v_mul_f32_e32 v154, v20, v154                              // 000000025E3C: 0B353514
	v_mul_f32_e32 v155, v20, v155                              // 000000025E40: 0B373714
	v_mul_f32_e32 v156, v20, v156                              // 000000025E44: 0B393914
	v_mul_f32_e32 v157, v20, v157                              // 000000025E48: 0B3B3B14
	v_mul_f32_e32 v158, v20, v158                              // 000000025E4C: 0B3D3D14
	v_mul_f32_e32 v159, v20, v159                              // 000000025E50: 0B3F3F14
	v_mul_f32_dpp v144, v248, v144 quad_perm:[0,0,0,0] row_mask:0xf bank_mask:0xf// 000000025E54: 0B2120FA FF0000F8
	v_mul_f32_dpp v145, v248, v145 quad_perm:[1,1,1,1] row_mask:0xf bank_mask:0xf// 000000025E5C: 0B2322FA FF0055F8
	v_mul_f32_dpp v146, v248, v146 quad_perm:[2,2,2,2] row_mask:0xf bank_mask:0xf// 000000025E64: 0B2524FA FF00AAF8
	v_mul_f32_dpp v147, v248, v147 quad_perm:[3,3,3,3] row_mask:0xf bank_mask:0xf// 000000025E6C: 0B2726FA FF00FFF8
	v_mul_f32_dpp v148, v249, v148 quad_perm:[0,0,0,0] row_mask:0xf bank_mask:0xf// 000000025E74: 0B2928FA FF0000F9
	v_mul_f32_dpp v149, v249, v149 quad_perm:[1,1,1,1] row_mask:0xf bank_mask:0xf// 000000025E7C: 0B2B2AFA FF0055F9
	v_mul_f32_dpp v150, v249, v150 quad_perm:[2,2,2,2] row_mask:0xf bank_mask:0xf// 000000025E84: 0B2D2CFA FF00AAF9
	v_mul_f32_dpp v151, v249, v151 quad_perm:[3,3,3,3] row_mask:0xf bank_mask:0xf// 000000025E8C: 0B2F2EFA FF00FFF9
	v_mul_f32_dpp v152, v250, v152 quad_perm:[0,0,0,0] row_mask:0xf bank_mask:0xf// 000000025E94: 0B3130FA FF0000FA
	v_mul_f32_dpp v153, v250, v153 quad_perm:[1,1,1,1] row_mask:0xf bank_mask:0xf// 000000025E9C: 0B3332FA FF0055FA
	v_mul_f32_dpp v154, v250, v154 quad_perm:[2,2,2,2] row_mask:0xf bank_mask:0xf// 000000025EA4: 0B3534FA FF00AAFA
	v_mul_f32_dpp v155, v250, v155 quad_perm:[3,3,3,3] row_mask:0xf bank_mask:0xf// 000000025EAC: 0B3736FA FF00FFFA
	v_mul_f32_dpp v156, v251, v156 quad_perm:[0,0,0,0] row_mask:0xf bank_mask:0xf// 000000025EB4: 0B3938FA FF0000FB
	v_mul_f32_dpp v157, v251, v157 quad_perm:[1,1,1,1] row_mask:0xf bank_mask:0xf// 000000025EBC: 0B3B3AFA FF0055FB
	v_mul_f32_dpp v158, v251, v158 quad_perm:[2,2,2,2] row_mask:0xf bank_mask:0xf// 000000025EC4: 0B3D3CFA FF00AAFB
	v_mul_f32_dpp v159, v251, v159 quad_perm:[3,3,3,3] row_mask:0xf bank_mask:0xf// 000000025ECC: 0B3F3EFA FF00FFFB
	s_and_b32 s60, s72, 0xff                                   // 000000025ED4: 863CFF48 000000FF
	v_mov_b32_e32 v65, s60                                     // 000000025EDC: 7E82023C
	v_lshrrev_b32_e32 v240, 4, v0                              // 000000025EE0: 21E00084
	v_mul_i32_i24_e32 v240, 4, v240                            // 000000025EE4: 0DE1E084
	s_mul_i32 s60, s7, 16                                      // 000000025EE8: 923C9007
	v_add_u32_e32 v240, s60, v240                              // 000000025EEC: 69E1E03C
	v_add_u32_e32 v241, 1, v240                                // 000000025EF0: 69E3E081
	v_add_u32_e32 v242, 2, v240                                // 000000025EF4: 69E5E082
	v_add_u32_e32 v243, 3, v240                                // 000000025EF8: 69E7E083
	v_mov_b32_e32 v64, 0xff800000                              // 000000025EFC: 7E8002FF FF800000
	v_cmp_lt_u32_e64 s[40:41], v240, v65                       // 000000025F04: D0C90028 000283F0
	v_add_u32_e32 v240, 64, v240                               // 000000025F0C: 69E1E0C0
	s_nop 0                                                    // 000000025F10: BF800000
	v_cndmask_b32_e64 v144, v64, v144, s[40:41]                // 000000025F14: D1000090 00A32140
	v_cmp_lt_u32_e64 s[40:41], v241, v65                       // 000000025F1C: D0C90028 000283F1
	v_add_u32_e32 v241, 64, v241                               // 000000025F24: 69E3E2C0
	s_nop 0                                                    // 000000025F28: BF800000
	v_cndmask_b32_e64 v145, v64, v145, s[40:41]                // 000000025F2C: D1000091 00A32340
	v_cmp_lt_u32_e64 s[40:41], v242, v65                       // 000000025F34: D0C90028 000283F2
	v_add_u32_e32 v242, 64, v242                               // 000000025F3C: 69E5E4C0
	s_nop 0                                                    // 000000025F40: BF800000
	v_cndmask_b32_e64 v146, v64, v146, s[40:41]                // 000000025F44: D1000092 00A32540
	v_cmp_lt_u32_e64 s[40:41], v243, v65                       // 000000025F4C: D0C90028 000283F3
	v_add_u32_e32 v243, 64, v243                               // 000000025F54: 69E7E6C0
	s_nop 0                                                    // 000000025F58: BF800000
	v_cndmask_b32_e64 v147, v64, v147, s[40:41]                // 000000025F5C: D1000093 00A32740
	v_cmp_lt_u32_e64 s[40:41], v240, v65                       // 000000025F64: D0C90028 000283F0
	v_add_u32_e32 v240, 64, v240                               // 000000025F6C: 69E1E0C0
	s_nop 0                                                    // 000000025F70: BF800000
	v_cndmask_b32_e64 v148, v64, v148, s[40:41]                // 000000025F74: D1000094 00A32940
	v_cmp_lt_u32_e64 s[40:41], v241, v65                       // 000000025F7C: D0C90028 000283F1
	v_add_u32_e32 v241, 64, v241                               // 000000025F84: 69E3E2C0
	s_nop 0                                                    // 000000025F88: BF800000
	v_cndmask_b32_e64 v149, v64, v149, s[40:41]                // 000000025F8C: D1000095 00A32B40
	v_cmp_lt_u32_e64 s[40:41], v242, v65                       // 000000025F94: D0C90028 000283F2
	v_add_u32_e32 v242, 64, v242                               // 000000025F9C: 69E5E4C0
	s_nop 0                                                    // 000000025FA0: BF800000
	v_cndmask_b32_e64 v150, v64, v150, s[40:41]                // 000000025FA4: D1000096 00A32D40
	v_cmp_lt_u32_e64 s[40:41], v243, v65                       // 000000025FAC: D0C90028 000283F3
	v_add_u32_e32 v243, 64, v243                               // 000000025FB4: 69E7E6C0
	s_nop 0                                                    // 000000025FB8: BF800000
	v_cndmask_b32_e64 v151, v64, v151, s[40:41]                // 000000025FBC: D1000097 00A32F40
	v_cmp_lt_u32_e64 s[40:41], v240, v65                       // 000000025FC4: D0C90028 000283F0
	v_add_u32_e32 v240, 64, v240                               // 000000025FCC: 69E1E0C0
	s_nop 0                                                    // 000000025FD0: BF800000
	v_cndmask_b32_e64 v152, v64, v152, s[40:41]                // 000000025FD4: D1000098 00A33140
	v_cmp_lt_u32_e64 s[40:41], v241, v65                       // 000000025FDC: D0C90028 000283F1
	v_add_u32_e32 v241, 64, v241                               // 000000025FE4: 69E3E2C0
	s_nop 0                                                    // 000000025FE8: BF800000
	v_cndmask_b32_e64 v153, v64, v153, s[40:41]                // 000000025FEC: D1000099 00A33340
	v_cmp_lt_u32_e64 s[40:41], v242, v65                       // 000000025FF4: D0C90028 000283F2
	v_add_u32_e32 v242, 64, v242                               // 000000025FFC: 69E5E4C0
	s_nop 0                                                    // 000000026000: BF800000
	v_cndmask_b32_e64 v154, v64, v154, s[40:41]                // 000000026004: D100009A 00A33540
	v_cmp_lt_u32_e64 s[40:41], v243, v65                       // 00000002600C: D0C90028 000283F3
	v_add_u32_e32 v243, 64, v243                               // 000000026014: 69E7E6C0
	s_nop 0                                                    // 000000026018: BF800000
	v_cndmask_b32_e64 v155, v64, v155, s[40:41]                // 00000002601C: D100009B 00A33740
	v_cmp_lt_u32_e64 s[40:41], v240, v65                       // 000000026024: D0C90028 000283F0
	v_add_u32_e32 v240, 64, v240                               // 00000002602C: 69E1E0C0
	s_nop 0                                                    // 000000026030: BF800000
	v_cndmask_b32_e64 v156, v64, v156, s[40:41]                // 000000026034: D100009C 00A33940
	v_cmp_lt_u32_e64 s[40:41], v241, v65                       // 00000002603C: D0C90028 000283F1
	v_add_u32_e32 v241, 64, v241                               // 000000026044: 69E3E2C0
	s_nop 0                                                    // 000000026048: BF800000
	v_cndmask_b32_e64 v157, v64, v157, s[40:41]                // 00000002604C: D100009D 00A33B40
	v_cmp_lt_u32_e64 s[40:41], v242, v65                       // 000000026054: D0C90028 000283F2
	v_add_u32_e32 v242, 64, v242                               // 00000002605C: 69E5E4C0
	s_nop 0                                                    // 000000026060: BF800000
	v_cndmask_b32_e64 v158, v64, v158, s[40:41]                // 000000026064: D100009E 00A33D40
	v_cmp_lt_u32_e64 s[40:41], v243, v65                       // 00000002606C: D0C90028 000283F3
	v_add_u32_e32 v243, 64, v243                               // 000000026074: 69E7E6C0
	s_nop 0                                                    // 000000026078: BF800000
	v_cndmask_b32_e64 v159, v64, v159, s[40:41]                // 00000002607C: D100009F 00A33F40
	v_mov_b32_e32 v48, v144                                    // 000000026084: 7E600390
	v_max3_f32 v48, v144, v145, v48                            // 000000026088: D1D30030 04C32390
	v_max3_f32 v48, v146, v147, v48                            // 000000026090: D1D30030 04C32792
	v_max3_f32 v48, v148, v149, v48                            // 000000026098: D1D30030 04C32B94
	v_max3_f32 v48, v150, v151, v48                            // 0000000260A0: D1D30030 04C32F96
	v_max3_f32 v48, v152, v153, v48                            // 0000000260A8: D1D30030 04C33398
	v_max3_f32 v48, v154, v155, v48                            // 0000000260B0: D1D30030 04C3379A
	v_max3_f32 v48, v156, v157, v48                            // 0000000260B8: D1D30030 04C33B9C
	v_max3_f32 v48, v158, v159, v48                            // 0000000260C0: D1D30030 04C33F9E
	ds_write_b32 v8, v48 offset:16896                          // 0000000260C8: D81A4200 00003008
	v_mul_f32_e32 v224, v51, v224                              // 0000000260D0: 0BC1C133
	v_mul_f32_e32 v225, v51, v225                              // 0000000260D4: 0BC3C333
	v_mul_f32_e32 v226, v51, v226                              // 0000000260D8: 0BC5C533
	v_mul_f32_e32 v227, v51, v227                              // 0000000260DC: 0BC7C733
	v_mul_f32_e32 v228, v51, v228                              // 0000000260E0: 0BC9C933
	v_mul_f32_e32 v229, v51, v229                              // 0000000260E4: 0BCBCB33
	v_mul_f32_e32 v230, v51, v230                              // 0000000260E8: 0BCDCD33
	v_mul_f32_e32 v231, v51, v231                              // 0000000260EC: 0BCFCF33
	s_waitcnt lgkmcnt(0)                                       // 0000000260F0: BF8CC07F
	s_barrier                                                  // 0000000260F4: BF8A0000
	ds_read_b32 v64, v7 offset:16896                           // 0000000260F8: D86C4200 40000007
	ds_read_b32 v65, v7 offset:16960                           // 000000026100: D86C4240 41000007
	ds_read_b32 v66, v7 offset:17024                           // 000000026108: D86C4280 42000007
	ds_read_b32 v67, v7 offset:17088                           // 000000026110: D86C42C0 43000007
	ds_read_b32 v68, v7 offset:17152                           // 000000026118: D86C4300 44000007
	ds_read_b32 v69, v7 offset:17216                           // 000000026120: D86C4340 45000007
	ds_read_b32 v70, v7 offset:17280                           // 000000026128: D86C4380 46000007
	ds_read_b32 v71, v7 offset:17344                           // 000000026130: D86C43C0 47000007
	ds_read_b32 v72, v7 offset:17408                           // 000000026138: D86C4400 48000007
	ds_read_b32 v73, v7 offset:17472                           // 000000026140: D86C4440 49000007
	ds_read_b32 v74, v7 offset:17536                           // 000000026148: D86C4480 4A000007
	ds_read_b32 v75, v7 offset:17600                           // 000000026150: D86C44C0 4B000007
	ds_read_b32 v76, v7 offset:17664                           // 000000026158: D86C4500 4C000007
	ds_read_b32 v77, v7 offset:17728                           // 000000026160: D86C4540 4D000007
	ds_read_b32 v78, v7 offset:17792                           // 000000026168: D86C4580 4E000007
	ds_read_b32 v79, v7 offset:17856                           // 000000026170: D86C45C0 4F000007
	v_cvt_f32_i32_e32 v192, v192                               // 000000026178: 7F800BC0
	v_cvt_f32_i32_e32 v193, v193                               // 00000002617C: 7F820BC1
	v_cvt_f32_i32_e32 v194, v194                               // 000000026180: 7F840BC2
	v_cvt_f32_i32_e32 v195, v195                               // 000000026184: 7F860BC3
	v_cvt_f32_i32_e32 v196, v196                               // 000000026188: 7F880BC4
	v_cvt_f32_i32_e32 v197, v197                               // 00000002618C: 7F8A0BC5
	v_cvt_f32_i32_e32 v198, v198                               // 000000026190: 7F8C0BC6
	v_cvt_f32_i32_e32 v199, v199                               // 000000026194: 7F8E0BC7
	v_mul_f32_e32 v192, v46, v192                              // 000000026198: 0B81812E
	v_mul_f32_e32 v193, v46, v193                              // 00000002619C: 0B83832E
	v_mul_f32_e32 v194, v46, v194                              // 0000000261A0: 0B85852E
	v_mul_f32_e32 v195, v46, v195                              // 0000000261A4: 0B87872E
	v_mul_f32_e32 v196, v46, v196                              // 0000000261A8: 0B89892E
	v_mul_f32_e32 v197, v46, v197                              // 0000000261AC: 0B8B8B2E
	v_mul_f32_e32 v198, v46, v198                              // 0000000261B0: 0B8D8D2E
	v_mul_f32_e32 v199, v46, v199                              // 0000000261B4: 0B8F8F2E
	s_waitcnt lgkmcnt(0)                                       // 0000000261B8: BF8CC07F
	v_max3_f32 v48, v64, v65, v48                              // 0000000261BC: D1D30030 04C28340
	v_max3_f32 v48, v66, v67, v48                              // 0000000261C4: D1D30030 04C28742
	v_max3_f32 v48, v68, v69, v48                              // 0000000261CC: D1D30030 04C28B44
	v_max3_f32 v48, v70, v71, v48                              // 0000000261D4: D1D30030 04C28F46
	v_max3_f32 v48, v72, v73, v48                              // 0000000261DC: D1D30030 04C29348
	v_max3_f32 v48, v74, v75, v48                              // 0000000261E4: D1D30030 04C2974A
	v_max3_f32 v48, v76, v77, v48                              // 0000000261EC: D1D30030 04C29B4C
	v_max3_f32 v48, v78, v79, v48                              // 0000000261F4: D1D30030 04C29F4E
	v_mov_b32_e32 v64, 0xff800000                              // 0000000261FC: 7E8002FF FF800000
	v_cmp_eq_u32_e64 s[40:41], v64, v13                        // 000000026204: D0CA0028 00021B40
	s_nop 1                                                    // 00000002620C: BF800001
	v_max_f32_e32 v15, v48, v13                                // 000000026210: 161E1B30
	v_mul_f32_e32 v53, s64, v15                                // 000000026214: 0A6A1E40
	v_fma_f32 v144, v144, s64, -v53                            // 000000026218: D1CB0090 84D48190
	v_fma_f32 v145, v145, s64, -v53                            // 000000026220: D1CB0091 84D48191
	v_fma_f32 v146, v146, s64, -v53                            // 000000026228: D1CB0092 84D48192
	v_fma_f32 v147, v147, s64, -v53                            // 000000026230: D1CB0093 84D48193
	v_fma_f32 v148, v148, s64, -v53                            // 000000026238: D1CB0094 84D48194
	v_fma_f32 v149, v149, s64, -v53                            // 000000026240: D1CB0095 84D48195
	v_fma_f32 v150, v150, s64, -v53                            // 000000026248: D1CB0096 84D48196
	v_fma_f32 v151, v151, s64, -v53                            // 000000026250: D1CB0097 84D48197
	v_fma_f32 v152, v152, s64, -v53                            // 000000026258: D1CB0098 84D48198
	v_fma_f32 v153, v153, s64, -v53                            // 000000026260: D1CB0099 84D48199
	v_fma_f32 v154, v154, s64, -v53                            // 000000026268: D1CB009A 84D4819A
	v_fma_f32 v155, v155, s64, -v53                            // 000000026270: D1CB009B 84D4819B
	v_fma_f32 v156, v156, s64, -v53                            // 000000026278: D1CB009C 84D4819C
	v_fma_f32 v157, v157, s64, -v53                            // 000000026280: D1CB009D 84D4819D
	v_fma_f32 v158, v158, s64, -v53                            // 000000026288: D1CB009E 84D4819E
	v_fma_f32 v159, v159, s64, -v53                            // 000000026290: D1CB009F 84D4819F
	v_exp_f32_e32 v144, v144                                   // 000000026298: 7F204190
	v_exp_f32_e32 v145, v145                                   // 00000002629C: 7F224191
	v_exp_f32_e32 v146, v146                                   // 0000000262A0: 7F244192
	v_exp_f32_e32 v147, v147                                   // 0000000262A4: 7F264193
	v_exp_f32_e32 v148, v148                                   // 0000000262A8: 7F284194
	v_exp_f32_e32 v149, v149                                   // 0000000262AC: 7F2A4195
	v_exp_f32_e32 v150, v150                                   // 0000000262B0: 7F2C4196
	v_exp_f32_e32 v151, v151                                   // 0000000262B4: 7F2E4197
	v_exp_f32_e32 v152, v152                                   // 0000000262B8: 7F304198
	v_exp_f32_e32 v153, v153                                   // 0000000262BC: 7F324199
	v_exp_f32_e32 v154, v154                                   // 0000000262C0: 7F34419A
	v_exp_f32_e32 v155, v155                                   // 0000000262C4: 7F36419B
	v_exp_f32_e32 v156, v156                                   // 0000000262C8: 7F38419C
	v_exp_f32_e32 v157, v157                                   // 0000000262CC: 7F3A419D
	v_exp_f32_e32 v158, v158                                   // 0000000262D0: 7F3C419E
	v_exp_f32_e32 v159, v159                                   // 0000000262D4: 7F3E419F
	v_mul_f32_dpp v240, v252, v144 quad_perm:[0,0,0,0] row_mask:0xf bank_mask:0xf// 0000000262D8: 0BE120FA FF0000FC
	v_mul_f32_dpp v241, v252, v145 quad_perm:[1,1,1,1] row_mask:0xf bank_mask:0xf// 0000000262E0: 0BE322FA FF0055FC
	v_mul_f32_dpp v242, v252, v146 quad_perm:[2,2,2,2] row_mask:0xf bank_mask:0xf// 0000000262E8: 0BE524FA FF00AAFC
	v_mul_f32_dpp v243, v252, v147 quad_perm:[3,3,3,3] row_mask:0xf bank_mask:0xf// 0000000262F0: 0BE726FA FF00FFFC
	v_mul_f32_dpp v244, v253, v148 quad_perm:[0,0,0,0] row_mask:0xf bank_mask:0xf// 0000000262F8: 0BE928FA FF0000FD
	v_mul_f32_dpp v245, v253, v149 quad_perm:[1,1,1,1] row_mask:0xf bank_mask:0xf// 000000026300: 0BEB2AFA FF0055FD
	v_mul_f32_dpp v246, v253, v150 quad_perm:[2,2,2,2] row_mask:0xf bank_mask:0xf// 000000026308: 0BED2CFA FF00AAFD
	v_mul_f32_dpp v247, v253, v151 quad_perm:[3,3,3,3] row_mask:0xf bank_mask:0xf// 000000026310: 0BEF2EFA FF00FFFD
	v_mul_f32_dpp v248, v254, v152 quad_perm:[0,0,0,0] row_mask:0xf bank_mask:0xf// 000000026318: 0BF130FA FF0000FE
	v_mul_f32_dpp v249, v254, v153 quad_perm:[1,1,1,1] row_mask:0xf bank_mask:0xf// 000000026320: 0BF332FA FF0055FE
	v_mul_f32_dpp v250, v254, v154 quad_perm:[2,2,2,2] row_mask:0xf bank_mask:0xf// 000000026328: 0BF534FA FF00AAFE
	v_mul_f32_dpp v251, v254, v155 quad_perm:[3,3,3,3] row_mask:0xf bank_mask:0xf// 000000026330: 0BF736FA FF00FFFE
	v_mul_f32_dpp v252, v255, v156 quad_perm:[0,0,0,0] row_mask:0xf bank_mask:0xf// 000000026338: 0BF938FA FF0000FF
	v_mul_f32_dpp v253, v255, v157 quad_perm:[1,1,1,1] row_mask:0xf bank_mask:0xf// 000000026340: 0BFB3AFA FF0055FF
	v_mul_f32_dpp v254, v255, v158 quad_perm:[2,2,2,2] row_mask:0xf bank_mask:0xf// 000000026348: 0BFD3CFA FF00AAFF
	v_mul_f32_dpp v255, v255, v159 quad_perm:[3,3,3,3] row_mask:0xf bank_mask:0xf// 000000026350: 0BFF3EFA FF00FFFF
	v_mov_b32_e32 v48, 0x358637bd                              // 000000026358: 7E6002FF 358637BD
	v_max3_f32 v48, |v240|, |v241|, v48                        // 000000026360: D1D30330 04C3E3F0
	v_max3_f32 v48, |v242|, |v243|, v48                        // 000000026368: D1D30330 04C3E7F2
	v_max3_f32 v48, |v244|, |v245|, v48                        // 000000026370: D1D30330 04C3EBF4
	v_max3_f32 v48, |v246|, |v247|, v48                        // 000000026378: D1D30330 04C3EFF6
	v_max3_f32 v48, |v248|, |v249|, v48                        // 000000026380: D1D30330 04C3F3F8
	v_max3_f32 v48, |v250|, |v251|, v48                        // 000000026388: D1D30330 04C3F7FA
	v_max3_f32 v48, |v252|, |v253|, v48                        // 000000026390: D1D30330 04C3FBFC
	v_max3_f32 v48, |v254|, |v255|, v48                        // 000000026398: D1D30330 04C3FFFE
	ds_write_b32 v8, v48 offset:20992                          // 0000000263A0: D81A5200 00003008
	v_sub_f32_e32 v51, v13, v15                                // 0000000263A8: 04661F0D
	v_cndmask_b32_e64 v51, v51, 0, s[40:41]                    // 0000000263AC: D1000033 00A10133
	v_mov_b32_e32 v13, v15                                     // 0000000263B4: 7E1A030F
	v_mul_f32_e32 v51, s64, v51                                // 0000000263B8: 0A666640
	v_exp_f32_e32 v51, v51                                     // 0000000263BC: 7E664133
	s_waitcnt lgkmcnt(0)                                       // 0000000263C0: BF8CC07F
	s_barrier                                                  // 0000000263C4: BF8A0000
	ds_read_b32 v64, v7 offset:20992                           // 0000000263C8: D86C5200 40000007
	ds_read_b32 v65, v7 offset:21056                           // 0000000263D0: D86C5240 41000007
	ds_read_b32 v66, v7 offset:21120                           // 0000000263D8: D86C5280 42000007
	ds_read_b32 v67, v7 offset:21184                           // 0000000263E0: D86C52C0 43000007
	ds_read_b32 v68, v7 offset:21248                           // 0000000263E8: D86C5300 44000007
	ds_read_b32 v69, v7 offset:21312                           // 0000000263F0: D86C5340 45000007
	ds_read_b32 v70, v7 offset:21376                           // 0000000263F8: D86C5380 46000007
	ds_read_b32 v71, v7 offset:21440                           // 000000026400: D86C53C0 47000007
	ds_read_b32 v72, v7 offset:21504                           // 000000026408: D86C5400 48000007
	ds_read_b32 v73, v7 offset:21568                           // 000000026410: D86C5440 49000007
	ds_read_b32 v74, v7 offset:21632                           // 000000026418: D86C5480 4A000007
	ds_read_b32 v75, v7 offset:21696                           // 000000026420: D86C54C0 4B000007
	ds_read_b32 v76, v7 offset:21760                           // 000000026428: D86C5500 4C000007
	ds_read_b32 v77, v7 offset:21824                           // 000000026430: D86C5540 4D000007
	ds_read_b32 v78, v7 offset:21888                           // 000000026438: D86C5580 4E000007
	ds_read_b32 v79, v7 offset:21952                           // 000000026440: D86C55C0 4F000007
	v_mul_f32_e32 v40, v51, v40                                // 000000026448: 0A505133
	v_mov_b32_e32 v15, v144                                    // 00000002644C: 7E1E0390
	v_add_f32_e32 v15, v145, v15                               // 000000026450: 021E1F91
	v_add_f32_e32 v15, v146, v15                               // 000000026454: 021E1F92
	v_add_f32_e32 v15, v147, v15                               // 000000026458: 021E1F93
	v_add_f32_e32 v15, v148, v15                               // 00000002645C: 021E1F94
	v_add_f32_e32 v15, v149, v15                               // 000000026460: 021E1F95
	v_add_f32_e32 v15, v150, v15                               // 000000026464: 021E1F96
	v_add_f32_e32 v15, v151, v15                               // 000000026468: 021E1F97
	v_add_f32_e32 v15, v152, v15                               // 00000002646C: 021E1F98
	v_add_f32_e32 v15, v153, v15                               // 000000026470: 021E1F99
	v_add_f32_e32 v15, v154, v15                               // 000000026474: 021E1F9A
	v_add_f32_e32 v15, v155, v15                               // 000000026478: 021E1F9B
	v_add_f32_e32 v15, v156, v15                               // 00000002647C: 021E1F9C
	v_add_f32_e32 v15, v157, v15                               // 000000026480: 021E1F9D
	v_add_f32_e32 v15, v158, v15                               // 000000026484: 021E1F9E
	v_add_f32_e32 v15, v159, v15                               // 000000026488: 021E1F9F
	v_add_f32_e32 v40, v15, v40                                // 00000002648C: 0250510F
	s_waitcnt lgkmcnt(0)                                       // 000000026490: BF8CC07F
	v_max3_f32 v48, |v64|, |v65|, v48                          // 000000026494: D1D30330 04C28340
	v_max3_f32 v48, |v66|, |v67|, v48                          // 00000002649C: D1D30330 04C28742
	v_max3_f32 v48, |v68|, |v69|, v48                          // 0000000264A4: D1D30330 04C28B44
	v_max3_f32 v48, |v70|, |v71|, v48                          // 0000000264AC: D1D30330 04C28F46
	v_max3_f32 v48, |v72|, |v73|, v48                          // 0000000264B4: D1D30330 04C29348
	v_max3_f32 v48, |v74|, |v75|, v48                          // 0000000264BC: D1D30330 04C2974A
	v_max3_f32 v48, |v76|, |v77|, v48                          // 0000000264C4: D1D30330 04C29B4C
	v_max3_f32 v48, |v78|, |v79|, v48                          // 0000000264CC: D1D30330 04C29F4E
	s_nop 2                                                    // 0000000264D4: BF800002
	v_rcp_f32_e32 v48, v48                                     // 0000000264D8: 7E604530
	s_nop 1                                                    // 0000000264DC: BF800001
	v_mul_f32_e32 v48, 0x42fe0000, v48                         // 0000000264E0: 0A6060FF 42FE0000
	v_mul_f32_e32 v144, v48, v240                              // 0000000264E8: 0B21E130
	v_mul_f32_e32 v145, v48, v241                              // 0000000264EC: 0B23E330
	v_mul_f32_e32 v146, v48, v242                              // 0000000264F0: 0B25E530
	v_mul_f32_e32 v147, v48, v243                              // 0000000264F4: 0B27E730
	v_mul_f32_e32 v148, v48, v244                              // 0000000264F8: 0B29E930
	v_mul_f32_e32 v149, v48, v245                              // 0000000264FC: 0B2BEB30
	v_mul_f32_e32 v150, v48, v246                              // 000000026500: 0B2DED30
	v_mul_f32_e32 v151, v48, v247                              // 000000026504: 0B2FEF30
	v_mul_f32_e32 v152, v48, v248                              // 000000026508: 0B31F130
	v_mul_f32_e32 v153, v48, v249                              // 00000002650C: 0B33F330
	v_mul_f32_e32 v154, v48, v250                              // 000000026510: 0B35F530
	v_mul_f32_e32 v155, v48, v251                              // 000000026514: 0B37F730
	v_mul_f32_e32 v156, v48, v252                              // 000000026518: 0B39F930
	v_mul_f32_e32 v157, v48, v253                              // 00000002651C: 0B3BFB30
	v_mul_f32_e32 v158, v48, v254                              // 000000026520: 0B3DFD30
	v_mul_f32_e32 v159, v48, v255                              // 000000026524: 0B3FFF30
	v_cvt_i32_f32_e32 v144, v144                               // 000000026528: 7F201190
	v_cvt_i32_f32_e32 v145, v145                               // 00000002652C: 7F221191
	v_cvt_i32_f32_e32 v146, v146                               // 000000026530: 7F241192
	v_cvt_i32_f32_e32 v147, v147                               // 000000026534: 7F261193
	v_cvt_i32_f32_e32 v148, v148                               // 000000026538: 7F281194
	v_cvt_i32_f32_e32 v149, v149                               // 00000002653C: 7F2A1195
	v_cvt_i32_f32_e32 v150, v150                               // 000000026540: 7F2C1196
	v_cvt_i32_f32_e32 v151, v151                               // 000000026544: 7F2E1197
	v_cvt_i32_f32_e32 v152, v152                               // 000000026548: 7F301198
	v_cvt_i32_f32_e32 v153, v153                               // 00000002654C: 7F321199
	v_cvt_i32_f32_e32 v154, v154                               // 000000026550: 7F34119A
	v_cvt_i32_f32_e32 v155, v155                               // 000000026554: 7F36119B
	v_cvt_i32_f32_e32 v156, v156                               // 000000026558: 7F38119C
	v_cvt_i32_f32_e32 v157, v157                               // 00000002655C: 7F3A119D
	v_cvt_i32_f32_e32 v158, v158                               // 000000026560: 7F3C119E
	v_cvt_i32_f32_e32 v159, v159                               // 000000026564: 7F3E119F
	v_perm_b32 v144, v145, v144, s53                           // 000000026568: D1ED0090 00D72191
	v_perm_b32 v144, v146, v144, s54                           // 000000026570: D1ED0090 00DB2192
	v_perm_b32 v144, v147, v144, s55                           // 000000026578: D1ED0090 00DF2193
	v_perm_b32 v145, v149, v148, s53                           // 000000026580: D1ED0091 00D72995
	v_perm_b32 v145, v150, v145, s54                           // 000000026588: D1ED0091 00DB2396
	v_perm_b32 v145, v151, v145, s55                           // 000000026590: D1ED0091 00DF2397
	v_perm_b32 v146, v153, v152, s53                           // 000000026598: D1ED0092 00D73199
	v_perm_b32 v146, v154, v146, s54                           // 0000000265A0: D1ED0092 00DB259A
	v_perm_b32 v146, v155, v146, s55                           // 0000000265A8: D1ED0092 00DF259B
	v_perm_b32 v147, v157, v156, s53                           // 0000000265B0: D1ED0093 00D7399D
	v_perm_b32 v147, v158, v147, s54                           // 0000000265B8: D1ED0093 00DB279E
	v_perm_b32 v147, v159, v147, s55                           // 0000000265C0: D1ED0093 00DF279F
	ds_write_b32 v10, v144 offset:33280                        // 0000000265C8: D81A8200 0000900A
	ds_write_b32 v10, v145 offset:34304                        // 0000000265D0: D81A8600 0000910A
	ds_write_b32 v10, v146 offset:35328                        // 0000000265D8: D81A8A00 0000920A
	ds_write_b32 v10, v147 offset:36352                        // 0000000265E0: D81A8E00 0000930A
	v_add_f32_e32 v224, v224, v192                             // 0000000265E8: 03C181E0
	v_add_f32_e32 v225, v225, v193                             // 0000000265EC: 03C383E1
	v_add_f32_e32 v226, v226, v194                             // 0000000265F0: 03C585E2
	v_add_f32_e32 v227, v227, v195                             // 0000000265F4: 03C787E3
	v_add_f32_e32 v228, v228, v196                             // 0000000265F8: 03C989E4
	v_add_f32_e32 v229, v229, v197                             // 0000000265FC: 03CB8BE5
	v_add_f32_e32 v230, v230, v198                             // 000000026600: 03CD8DE6
	v_add_f32_e32 v231, v231, v199                             // 000000026604: 03CF8FE7
	v_rcp_f32_e32 v46, v48                                     // 000000026608: 7E5C4530
	s_waitcnt lgkmcnt(0)                                       // 00000002660C: BF8CC07F
	s_barrier                                                  // 000000026610: BF8A0000
	ds_read_b64 v[144:145], v9 offset:33280                    // 000000026614: D8EC8200 90000009
	ds_read_b64 v[146:147], v9 offset:33408                    // 00000002661C: D8EC8280 92000009
	ds_read_b64 v[148:149], v9 offset:34304                    // 000000026624: D8EC8600 94000009
	ds_read_b64 v[150:151], v9 offset:34432                    // 00000002662C: D8EC8680 96000009
	ds_read_b64 v[152:153], v9 offset:35328                    // 000000026634: D8EC8A00 98000009
	ds_read_b64 v[154:155], v9 offset:35456                    // 00000002663C: D8EC8A80 9A000009
	ds_read_b64 v[156:157], v9 offset:36352                    // 000000026644: D8EC8E00 9C000009
	ds_read_b64 v[158:159], v9 offset:36480                    // 00000002664C: D8EC8E80 9E000009
	v_mov_b32_dpp v64, v42 row_shr:4 row_mask:0xf bank_mask:0xf// 000000026654: 7E8002FA FF01142A
	v_mov_b32_dpp v65, v42 row_shl:4 row_mask:0xf bank_mask:0xf// 00000002665C: 7E8202FA FF01042A
	v_cndmask_b32_e64 v248, v42, v64, s[44:45]                 // 000000026664: D10000F8 00B2812A
	v_cndmask_b32_e64 v249, v65, v42, s[44:45]                 // 00000002666C: D10000F9 00B25541
	v_mov_b32_dpp v64, v248 row_shr:8 row_mask:0xf bank_mask:0xf// 000000026674: 7E8002FA FF0118F8
	v_mov_b32_dpp v65, v248 row_shl:8 row_mask:0xf bank_mask:0xf// 00000002667C: 7E8202FA FF0108F8
	v_mov_b32_dpp v66, v249 row_shr:8 row_mask:0xf bank_mask:0xf// 000000026684: 7E8402FA FF0118F9
	v_mov_b32_dpp v67, v249 row_shl:8 row_mask:0xf bank_mask:0xf// 00000002668C: 7E8602FA FF0108F9
	v_mov_b32_e32 v68, v248                                    // 000000026694: 7E8803F8
	v_mov_b32_e32 v69, v249                                    // 000000026698: 7E8A03F9
	v_cndmask_b32_e64 v248, v68, v64, s[42:43]                 // 00000002669C: D10000F8 00AA8144
	v_cndmask_b32_e64 v250, v68, v65, s[78:79]                 // 0000000266A4: D10000FA 013A8344
	v_cndmask_b32_e64 v249, v69, v66, s[42:43]                 // 0000000266AC: D10000F9 00AA8545
	v_cndmask_b32_e64 v251, v69, v67, s[78:79]                 // 0000000266B4: D10000FB 013A8745
	v_mov_b32_dpp v64, v57 row_shr:4 row_mask:0xf bank_mask:0xf// 0000000266BC: 7E8002FA FF011439
	v_mov_b32_dpp v65, v57 row_shl:4 row_mask:0xf bank_mask:0xf// 0000000266C4: 7E8202FA FF010439
	v_cndmask_b32_e64 v252, v57, v64, s[44:45]                 // 0000000266CC: D10000FC 00B28139
	v_cndmask_b32_e64 v253, v65, v57, s[44:45]                 // 0000000266D4: D10000FD 00B27341
	v_mov_b32_dpp v64, v252 row_shr:8 row_mask:0xf bank_mask:0xf// 0000000266DC: 7E8002FA FF0118FC
	v_mov_b32_dpp v65, v252 row_shl:8 row_mask:0xf bank_mask:0xf// 0000000266E4: 7E8202FA FF0108FC
	v_mov_b32_dpp v66, v253 row_shr:8 row_mask:0xf bank_mask:0xf// 0000000266EC: 7E8402FA FF0118FD
	v_mov_b32_dpp v67, v253 row_shl:8 row_mask:0xf bank_mask:0xf// 0000000266F4: 7E8602FA FF0108FD
	v_mov_b32_e32 v68, v252                                    // 0000000266FC: 7E8803FC
	v_mov_b32_e32 v69, v253                                    // 000000026700: 7E8A03FD
	v_cndmask_b32_e64 v252, v68, v64, s[42:43]                 // 000000026704: D10000FC 00AA8144
	v_cndmask_b32_e64 v254, v68, v65, s[78:79]                 // 00000002670C: D10000FE 013A8344
	v_cndmask_b32_e64 v253, v69, v66, s[42:43]                 // 000000026714: D10000FD 00AA8545
	v_cndmask_b32_e64 v255, v69, v67, s[78:79]                 // 00000002671C: D10000FF 013A8745
	v_cvt_f32_i32_e32 v160, v160                               // 000000026724: 7F400BA0
	v_cvt_f32_i32_e32 v161, v161                               // 000000026728: 7F420BA1
	v_cvt_f32_i32_e32 v162, v162                               // 00000002672C: 7F440BA2
	v_cvt_f32_i32_e32 v163, v163                               // 000000026730: 7F460BA3
	v_cvt_f32_i32_e32 v164, v164                               // 000000026734: 7F480BA4
	v_cvt_f32_i32_e32 v165, v165                               // 000000026738: 7F4A0BA5
	v_cvt_f32_i32_e32 v166, v166                               // 00000002673C: 7F4C0BA6
	v_cvt_f32_i32_e32 v167, v167                               // 000000026740: 7F4E0BA7
	v_cvt_f32_i32_e32 v168, v168                               // 000000026744: 7F500BA8
	v_cvt_f32_i32_e32 v169, v169                               // 000000026748: 7F520BA9
	v_cvt_f32_i32_e32 v170, v170                               // 00000002674C: 7F540BAA
	v_cvt_f32_i32_e32 v171, v171                               // 000000026750: 7F560BAB
	v_cvt_f32_i32_e32 v172, v172                               // 000000026754: 7F580BAC
	v_cvt_f32_i32_e32 v173, v173                               // 000000026758: 7F5A0BAD
	v_cvt_f32_i32_e32 v174, v174                               // 00000002675C: 7F5C0BAE
	v_cvt_f32_i32_e32 v175, v175                               // 000000026760: 7F5E0BAF
	v_mul_f32_e32 v160, v21, v160                              // 000000026764: 0B414115
	v_mul_f32_e32 v161, v21, v161                              // 000000026768: 0B434315
	v_mul_f32_e32 v162, v21, v162                              // 00000002676C: 0B454515
	v_mul_f32_e32 v163, v21, v163                              // 000000026770: 0B474715
	v_mul_f32_e32 v164, v21, v164                              // 000000026774: 0B494915
	v_mul_f32_e32 v165, v21, v165                              // 000000026778: 0B4B4B15
	v_mul_f32_e32 v166, v21, v166                              // 00000002677C: 0B4D4D15
	v_mul_f32_e32 v167, v21, v167                              // 000000026780: 0B4F4F15
	v_mul_f32_e32 v168, v21, v168                              // 000000026784: 0B515115
	v_mul_f32_e32 v169, v21, v169                              // 000000026788: 0B535315
	v_mul_f32_e32 v170, v21, v170                              // 00000002678C: 0B555515
	v_mul_f32_e32 v171, v21, v171                              // 000000026790: 0B575715
	v_mul_f32_e32 v172, v21, v172                              // 000000026794: 0B595915
	v_mul_f32_e32 v173, v21, v173                              // 000000026798: 0B5B5B15
	v_mul_f32_e32 v174, v21, v174                              // 00000002679C: 0B5D5D15
	v_mul_f32_e32 v175, v21, v175                              // 0000000267A0: 0B5F5F15
	v_mul_f32_dpp v160, v248, v160 quad_perm:[0,0,0,0] row_mask:0xf bank_mask:0xf// 0000000267A4: 0B4140FA FF0000F8
	v_mul_f32_dpp v161, v248, v161 quad_perm:[1,1,1,1] row_mask:0xf bank_mask:0xf// 0000000267AC: 0B4342FA FF0055F8
	v_mul_f32_dpp v162, v248, v162 quad_perm:[2,2,2,2] row_mask:0xf bank_mask:0xf// 0000000267B4: 0B4544FA FF00AAF8
	v_mul_f32_dpp v163, v248, v163 quad_perm:[3,3,3,3] row_mask:0xf bank_mask:0xf// 0000000267BC: 0B4746FA FF00FFF8
	v_mul_f32_dpp v164, v249, v164 quad_perm:[0,0,0,0] row_mask:0xf bank_mask:0xf// 0000000267C4: 0B4948FA FF0000F9
	v_mul_f32_dpp v165, v249, v165 quad_perm:[1,1,1,1] row_mask:0xf bank_mask:0xf// 0000000267CC: 0B4B4AFA FF0055F9
	v_mul_f32_dpp v166, v249, v166 quad_perm:[2,2,2,2] row_mask:0xf bank_mask:0xf// 0000000267D4: 0B4D4CFA FF00AAF9
	v_mul_f32_dpp v167, v249, v167 quad_perm:[3,3,3,3] row_mask:0xf bank_mask:0xf// 0000000267DC: 0B4F4EFA FF00FFF9
	v_mul_f32_dpp v168, v250, v168 quad_perm:[0,0,0,0] row_mask:0xf bank_mask:0xf// 0000000267E4: 0B5150FA FF0000FA
	v_mul_f32_dpp v169, v250, v169 quad_perm:[1,1,1,1] row_mask:0xf bank_mask:0xf// 0000000267EC: 0B5352FA FF0055FA
	v_mul_f32_dpp v170, v250, v170 quad_perm:[2,2,2,2] row_mask:0xf bank_mask:0xf// 0000000267F4: 0B5554FA FF00AAFA
	v_mul_f32_dpp v171, v250, v171 quad_perm:[3,3,3,3] row_mask:0xf bank_mask:0xf// 0000000267FC: 0B5756FA FF00FFFA
	v_mul_f32_dpp v172, v251, v172 quad_perm:[0,0,0,0] row_mask:0xf bank_mask:0xf// 000000026804: 0B5958FA FF0000FB
	v_mul_f32_dpp v173, v251, v173 quad_perm:[1,1,1,1] row_mask:0xf bank_mask:0xf// 00000002680C: 0B5B5AFA FF0055FB
	v_mul_f32_dpp v174, v251, v174 quad_perm:[2,2,2,2] row_mask:0xf bank_mask:0xf// 000000026814: 0B5D5CFA FF00AAFB
	v_mul_f32_dpp v175, v251, v175 quad_perm:[3,3,3,3] row_mask:0xf bank_mask:0xf// 00000002681C: 0B5F5EFA FF00FFFB
	s_and_b32 s60, s72, 0xff                                   // 000000026824: 863CFF48 000000FF
	v_mov_b32_e32 v65, s60                                     // 00000002682C: 7E82023C
	v_lshrrev_b32_e32 v240, 4, v0                              // 000000026830: 21E00084
	v_mul_i32_i24_e32 v240, 4, v240                            // 000000026834: 0DE1E084
	s_mul_i32 s60, s7, 16                                      // 000000026838: 923C9007
	v_add_u32_e32 v240, s60, v240                              // 00000002683C: 69E1E03C
	v_add_u32_e32 v241, 1, v240                                // 000000026840: 69E3E081
	v_add_u32_e32 v242, 2, v240                                // 000000026844: 69E5E082
	v_add_u32_e32 v243, 3, v240                                // 000000026848: 69E7E083
	v_mov_b32_e32 v64, 0xff800000                              // 00000002684C: 7E8002FF FF800000
	v_cmp_lt_u32_e64 s[40:41], v240, v65                       // 000000026854: D0C90028 000283F0
	v_add_u32_e32 v240, 64, v240                               // 00000002685C: 69E1E0C0
	s_nop 0                                                    // 000000026860: BF800000
	v_cndmask_b32_e64 v160, v64, v160, s[40:41]                // 000000026864: D10000A0 00A34140
	v_cmp_lt_u32_e64 s[40:41], v241, v65                       // 00000002686C: D0C90028 000283F1
	v_add_u32_e32 v241, 64, v241                               // 000000026874: 69E3E2C0
	s_nop 0                                                    // 000000026878: BF800000
	v_cndmask_b32_e64 v161, v64, v161, s[40:41]                // 00000002687C: D10000A1 00A34340
	v_cmp_lt_u32_e64 s[40:41], v242, v65                       // 000000026884: D0C90028 000283F2
	v_add_u32_e32 v242, 64, v242                               // 00000002688C: 69E5E4C0
	s_nop 0                                                    // 000000026890: BF800000
	v_cndmask_b32_e64 v162, v64, v162, s[40:41]                // 000000026894: D10000A2 00A34540
	v_cmp_lt_u32_e64 s[40:41], v243, v65                       // 00000002689C: D0C90028 000283F3
	v_add_u32_e32 v243, 64, v243                               // 0000000268A4: 69E7E6C0
	s_nop 0                                                    // 0000000268A8: BF800000
	v_cndmask_b32_e64 v163, v64, v163, s[40:41]                // 0000000268AC: D10000A3 00A34740
	v_cmp_lt_u32_e64 s[40:41], v240, v65                       // 0000000268B4: D0C90028 000283F0
	v_add_u32_e32 v240, 64, v240                               // 0000000268BC: 69E1E0C0
	s_nop 0                                                    // 0000000268C0: BF800000
	v_cndmask_b32_e64 v164, v64, v164, s[40:41]                // 0000000268C4: D10000A4 00A34940
	v_cmp_lt_u32_e64 s[40:41], v241, v65                       // 0000000268CC: D0C90028 000283F1
	v_add_u32_e32 v241, 64, v241                               // 0000000268D4: 69E3E2C0
	s_nop 0                                                    // 0000000268D8: BF800000
	v_cndmask_b32_e64 v165, v64, v165, s[40:41]                // 0000000268DC: D10000A5 00A34B40
	v_cmp_lt_u32_e64 s[40:41], v242, v65                       // 0000000268E4: D0C90028 000283F2
	v_add_u32_e32 v242, 64, v242                               // 0000000268EC: 69E5E4C0
	s_nop 0                                                    // 0000000268F0: BF800000
	v_cndmask_b32_e64 v166, v64, v166, s[40:41]                // 0000000268F4: D10000A6 00A34D40
	v_cmp_lt_u32_e64 s[40:41], v243, v65                       // 0000000268FC: D0C90028 000283F3
	v_add_u32_e32 v243, 64, v243                               // 000000026904: 69E7E6C0
	s_nop 0                                                    // 000000026908: BF800000
	v_cndmask_b32_e64 v167, v64, v167, s[40:41]                // 00000002690C: D10000A7 00A34F40
	v_cmp_lt_u32_e64 s[40:41], v240, v65                       // 000000026914: D0C90028 000283F0
	v_add_u32_e32 v240, 64, v240                               // 00000002691C: 69E1E0C0
	s_nop 0                                                    // 000000026920: BF800000
	v_cndmask_b32_e64 v168, v64, v168, s[40:41]                // 000000026924: D10000A8 00A35140
	v_cmp_lt_u32_e64 s[40:41], v241, v65                       // 00000002692C: D0C90028 000283F1
	v_add_u32_e32 v241, 64, v241                               // 000000026934: 69E3E2C0
	s_nop 0                                                    // 000000026938: BF800000
	v_cndmask_b32_e64 v169, v64, v169, s[40:41]                // 00000002693C: D10000A9 00A35340
	v_cmp_lt_u32_e64 s[40:41], v242, v65                       // 000000026944: D0C90028 000283F2
	v_add_u32_e32 v242, 64, v242                               // 00000002694C: 69E5E4C0
	s_nop 0                                                    // 000000026950: BF800000
	v_cndmask_b32_e64 v170, v64, v170, s[40:41]                // 000000026954: D10000AA 00A35540
	v_cmp_lt_u32_e64 s[40:41], v243, v65                       // 00000002695C: D0C90028 000283F3
	v_add_u32_e32 v243, 64, v243                               // 000000026964: 69E7E6C0
	s_nop 0                                                    // 000000026968: BF800000
	v_cndmask_b32_e64 v171, v64, v171, s[40:41]                // 00000002696C: D10000AB 00A35740
	v_cmp_lt_u32_e64 s[40:41], v240, v65                       // 000000026974: D0C90028 000283F0
	v_add_u32_e32 v240, 64, v240                               // 00000002697C: 69E1E0C0
	s_nop 0                                                    // 000000026980: BF800000
	v_cndmask_b32_e64 v172, v64, v172, s[40:41]                // 000000026984: D10000AC 00A35940
	v_cmp_lt_u32_e64 s[40:41], v241, v65                       // 00000002698C: D0C90028 000283F1
	v_add_u32_e32 v241, 64, v241                               // 000000026994: 69E3E2C0
	s_nop 0                                                    // 000000026998: BF800000
	v_cndmask_b32_e64 v173, v64, v173, s[40:41]                // 00000002699C: D10000AD 00A35B40
	v_cmp_lt_u32_e64 s[40:41], v242, v65                       // 0000000269A4: D0C90028 000283F2
	v_add_u32_e32 v242, 64, v242                               // 0000000269AC: 69E5E4C0
	s_nop 0                                                    // 0000000269B0: BF800000
	v_cndmask_b32_e64 v174, v64, v174, s[40:41]                // 0000000269B4: D10000AE 00A35D40
	v_cmp_lt_u32_e64 s[40:41], v243, v65                       // 0000000269BC: D0C90028 000283F3
	v_add_u32_e32 v243, 64, v243                               // 0000000269C4: 69E7E6C0
	s_nop 0                                                    // 0000000269C8: BF800000
	v_cndmask_b32_e64 v175, v64, v175, s[40:41]                // 0000000269CC: D10000AF 00A35F40
	v_mov_b32_e32 v48, v160                                    // 0000000269D4: 7E6003A0
	v_max3_f32 v48, v160, v161, v48                            // 0000000269D8: D1D30030 04C343A0
	v_max3_f32 v48, v162, v163, v48                            // 0000000269E0: D1D30030 04C347A2
	v_max3_f32 v48, v164, v165, v48                            // 0000000269E8: D1D30030 04C34BA4
	v_max3_f32 v48, v166, v167, v48                            // 0000000269F0: D1D30030 04C34FA6
	v_max3_f32 v48, v168, v169, v48                            // 0000000269F8: D1D30030 04C353A8
	v_max3_f32 v48, v170, v171, v48                            // 000000026A00: D1D30030 04C357AA
	v_max3_f32 v48, v172, v173, v48                            // 000000026A08: D1D30030 04C35BAC
	v_max3_f32 v48, v174, v175, v48                            // 000000026A10: D1D30030 04C35FAE
	ds_write_b32 v8, v48 offset:16896                          // 000000026A18: D81A4200 00003008
	v_mul_f32_e32 v232, v52, v232                              // 000000026A20: 0BD1D134
	v_mul_f32_e32 v233, v52, v233                              // 000000026A24: 0BD3D334
	v_mul_f32_e32 v234, v52, v234                              // 000000026A28: 0BD5D534
	v_mul_f32_e32 v235, v52, v235                              // 000000026A2C: 0BD7D734
	v_mul_f32_e32 v236, v52, v236                              // 000000026A30: 0BD9D934
	v_mul_f32_e32 v237, v52, v237                              // 000000026A34: 0BDBDB34
	v_mul_f32_e32 v238, v52, v238                              // 000000026A38: 0BDDDD34
	v_mul_f32_e32 v239, v52, v239                              // 000000026A3C: 0BDFDF34
	s_waitcnt lgkmcnt(0)                                       // 000000026A40: BF8CC07F
	s_barrier                                                  // 000000026A44: BF8A0000
	ds_read_b32 v64, v7 offset:16896                           // 000000026A48: D86C4200 40000007
	ds_read_b32 v65, v7 offset:16960                           // 000000026A50: D86C4240 41000007
	ds_read_b32 v66, v7 offset:17024                           // 000000026A58: D86C4280 42000007
	ds_read_b32 v67, v7 offset:17088                           // 000000026A60: D86C42C0 43000007
	ds_read_b32 v68, v7 offset:17152                           // 000000026A68: D86C4300 44000007
	ds_read_b32 v69, v7 offset:17216                           // 000000026A70: D86C4340 45000007
	ds_read_b32 v70, v7 offset:17280                           // 000000026A78: D86C4380 46000007
	ds_read_b32 v71, v7 offset:17344                           // 000000026A80: D86C43C0 47000007
	ds_read_b32 v72, v7 offset:17408                           // 000000026A88: D86C4400 48000007
	ds_read_b32 v73, v7 offset:17472                           // 000000026A90: D86C4440 49000007
	ds_read_b32 v74, v7 offset:17536                           // 000000026A98: D86C4480 4A000007
	ds_read_b32 v75, v7 offset:17600                           // 000000026AA0: D86C44C0 4B000007
	ds_read_b32 v76, v7 offset:17664                           // 000000026AA8: D86C4500 4C000007
	ds_read_b32 v77, v7 offset:17728                           // 000000026AB0: D86C4540 4D000007
	ds_read_b32 v78, v7 offset:17792                           // 000000026AB8: D86C4580 4E000007
	ds_read_b32 v79, v7 offset:17856                           // 000000026AC0: D86C45C0 4F000007
	v_cvt_f32_i32_e32 v200, v200                               // 000000026AC8: 7F900BC8
	v_cvt_f32_i32_e32 v201, v201                               // 000000026ACC: 7F920BC9
	v_cvt_f32_i32_e32 v202, v202                               // 000000026AD0: 7F940BCA
	v_cvt_f32_i32_e32 v203, v203                               // 000000026AD4: 7F960BCB
	v_cvt_f32_i32_e32 v204, v204                               // 000000026AD8: 7F980BCC
	v_cvt_f32_i32_e32 v205, v205                               // 000000026ADC: 7F9A0BCD
	v_cvt_f32_i32_e32 v206, v206                               // 000000026AE0: 7F9C0BCE
	v_cvt_f32_i32_e32 v207, v207                               // 000000026AE4: 7F9E0BCF
	v_mul_f32_e32 v200, v47, v200                              // 000000026AE8: 0B91912F
	v_mul_f32_e32 v201, v47, v201                              // 000000026AEC: 0B93932F
	v_mul_f32_e32 v202, v47, v202                              // 000000026AF0: 0B95952F
	v_mul_f32_e32 v203, v47, v203                              // 000000026AF4: 0B97972F
	v_mul_f32_e32 v204, v47, v204                              // 000000026AF8: 0B99992F
	v_mul_f32_e32 v205, v47, v205                              // 000000026AFC: 0B9B9B2F
	v_mul_f32_e32 v206, v47, v206                              // 000000026B00: 0B9D9D2F
	v_mul_f32_e32 v207, v47, v207                              // 000000026B04: 0B9F9F2F
	s_waitcnt lgkmcnt(0)                                       // 000000026B08: BF8CC07F
	v_max3_f32 v48, v64, v65, v48                              // 000000026B0C: D1D30030 04C28340
	v_max3_f32 v48, v66, v67, v48                              // 000000026B14: D1D30030 04C28742
	v_max3_f32 v48, v68, v69, v48                              // 000000026B1C: D1D30030 04C28B44
	v_max3_f32 v48, v70, v71, v48                              // 000000026B24: D1D30030 04C28F46
	v_max3_f32 v48, v72, v73, v48                              // 000000026B2C: D1D30030 04C29348
	v_max3_f32 v48, v74, v75, v48                              // 000000026B34: D1D30030 04C2974A
	v_max3_f32 v48, v76, v77, v48                              // 000000026B3C: D1D30030 04C29B4C
	v_max3_f32 v48, v78, v79, v48                              // 000000026B44: D1D30030 04C29F4E
	v_mov_b32_e32 v64, 0xff800000                              // 000000026B4C: 7E8002FF FF800000
	v_cmp_eq_u32_e64 s[40:41], v64, v14                        // 000000026B54: D0CA0028 00021D40
	s_nop 1                                                    // 000000026B5C: BF800001
	v_max_f32_e32 v15, v48, v14                                // 000000026B60: 161E1D30
	v_mul_f32_e32 v53, s64, v15                                // 000000026B64: 0A6A1E40
	v_fma_f32 v160, v160, s64, -v53                            // 000000026B68: D1CB00A0 84D481A0
	v_fma_f32 v161, v161, s64, -v53                            // 000000026B70: D1CB00A1 84D481A1
	v_fma_f32 v162, v162, s64, -v53                            // 000000026B78: D1CB00A2 84D481A2
	v_fma_f32 v163, v163, s64, -v53                            // 000000026B80: D1CB00A3 84D481A3
	v_fma_f32 v164, v164, s64, -v53                            // 000000026B88: D1CB00A4 84D481A4
	v_fma_f32 v165, v165, s64, -v53                            // 000000026B90: D1CB00A5 84D481A5
	v_fma_f32 v166, v166, s64, -v53                            // 000000026B98: D1CB00A6 84D481A6
	v_fma_f32 v167, v167, s64, -v53                            // 000000026BA0: D1CB00A7 84D481A7
	v_fma_f32 v168, v168, s64, -v53                            // 000000026BA8: D1CB00A8 84D481A8
	v_fma_f32 v169, v169, s64, -v53                            // 000000026BB0: D1CB00A9 84D481A9
	v_fma_f32 v170, v170, s64, -v53                            // 000000026BB8: D1CB00AA 84D481AA
	v_fma_f32 v171, v171, s64, -v53                            // 000000026BC0: D1CB00AB 84D481AB
	v_fma_f32 v172, v172, s64, -v53                            // 000000026BC8: D1CB00AC 84D481AC
	v_fma_f32 v173, v173, s64, -v53                            // 000000026BD0: D1CB00AD 84D481AD
	v_fma_f32 v174, v174, s64, -v53                            // 000000026BD8: D1CB00AE 84D481AE
	v_fma_f32 v175, v175, s64, -v53                            // 000000026BE0: D1CB00AF 84D481AF
	v_exp_f32_e32 v160, v160                                   // 000000026BE8: 7F4041A0
	v_exp_f32_e32 v161, v161                                   // 000000026BEC: 7F4241A1
	v_exp_f32_e32 v162, v162                                   // 000000026BF0: 7F4441A2
	v_exp_f32_e32 v163, v163                                   // 000000026BF4: 7F4641A3
	v_exp_f32_e32 v164, v164                                   // 000000026BF8: 7F4841A4
	v_exp_f32_e32 v165, v165                                   // 000000026BFC: 7F4A41A5
	v_exp_f32_e32 v166, v166                                   // 000000026C00: 7F4C41A6
	v_exp_f32_e32 v167, v167                                   // 000000026C04: 7F4E41A7
	v_exp_f32_e32 v168, v168                                   // 000000026C08: 7F5041A8
	v_exp_f32_e32 v169, v169                                   // 000000026C0C: 7F5241A9
	v_exp_f32_e32 v170, v170                                   // 000000026C10: 7F5441AA
	v_exp_f32_e32 v171, v171                                   // 000000026C14: 7F5641AB
	v_exp_f32_e32 v172, v172                                   // 000000026C18: 7F5841AC
	v_exp_f32_e32 v173, v173                                   // 000000026C1C: 7F5A41AD
	v_exp_f32_e32 v174, v174                                   // 000000026C20: 7F5C41AE
	v_exp_f32_e32 v175, v175                                   // 000000026C24: 7F5E41AF
	v_mul_f32_dpp v240, v252, v160 quad_perm:[0,0,0,0] row_mask:0xf bank_mask:0xf// 000000026C28: 0BE140FA FF0000FC
	v_mul_f32_dpp v241, v252, v161 quad_perm:[1,1,1,1] row_mask:0xf bank_mask:0xf// 000000026C30: 0BE342FA FF0055FC
	v_mul_f32_dpp v242, v252, v162 quad_perm:[2,2,2,2] row_mask:0xf bank_mask:0xf// 000000026C38: 0BE544FA FF00AAFC
	v_mul_f32_dpp v243, v252, v163 quad_perm:[3,3,3,3] row_mask:0xf bank_mask:0xf// 000000026C40: 0BE746FA FF00FFFC
	v_mul_f32_dpp v244, v253, v164 quad_perm:[0,0,0,0] row_mask:0xf bank_mask:0xf// 000000026C48: 0BE948FA FF0000FD
	v_mul_f32_dpp v245, v253, v165 quad_perm:[1,1,1,1] row_mask:0xf bank_mask:0xf// 000000026C50: 0BEB4AFA FF0055FD
	v_mul_f32_dpp v246, v253, v166 quad_perm:[2,2,2,2] row_mask:0xf bank_mask:0xf// 000000026C58: 0BED4CFA FF00AAFD
	v_mul_f32_dpp v247, v253, v167 quad_perm:[3,3,3,3] row_mask:0xf bank_mask:0xf// 000000026C60: 0BEF4EFA FF00FFFD
	v_mul_f32_dpp v248, v254, v168 quad_perm:[0,0,0,0] row_mask:0xf bank_mask:0xf// 000000026C68: 0BF150FA FF0000FE
	v_mul_f32_dpp v249, v254, v169 quad_perm:[1,1,1,1] row_mask:0xf bank_mask:0xf// 000000026C70: 0BF352FA FF0055FE
	v_mul_f32_dpp v250, v254, v170 quad_perm:[2,2,2,2] row_mask:0xf bank_mask:0xf// 000000026C78: 0BF554FA FF00AAFE
	v_mul_f32_dpp v251, v254, v171 quad_perm:[3,3,3,3] row_mask:0xf bank_mask:0xf// 000000026C80: 0BF756FA FF00FFFE
	v_mul_f32_dpp v252, v255, v172 quad_perm:[0,0,0,0] row_mask:0xf bank_mask:0xf// 000000026C88: 0BF958FA FF0000FF
	v_mul_f32_dpp v253, v255, v173 quad_perm:[1,1,1,1] row_mask:0xf bank_mask:0xf// 000000026C90: 0BFB5AFA FF0055FF
	v_mul_f32_dpp v254, v255, v174 quad_perm:[2,2,2,2] row_mask:0xf bank_mask:0xf// 000000026C98: 0BFD5CFA FF00AAFF
	v_mul_f32_dpp v255, v255, v175 quad_perm:[3,3,3,3] row_mask:0xf bank_mask:0xf// 000000026CA0: 0BFF5EFA FF00FFFF
	v_mov_b32_e32 v48, 0x358637bd                              // 000000026CA8: 7E6002FF 358637BD
	v_max3_f32 v48, |v240|, |v241|, v48                        // 000000026CB0: D1D30330 04C3E3F0
	v_max3_f32 v48, |v242|, |v243|, v48                        // 000000026CB8: D1D30330 04C3E7F2
	v_max3_f32 v48, |v244|, |v245|, v48                        // 000000026CC0: D1D30330 04C3EBF4
	v_max3_f32 v48, |v246|, |v247|, v48                        // 000000026CC8: D1D30330 04C3EFF6
	v_max3_f32 v48, |v248|, |v249|, v48                        // 000000026CD0: D1D30330 04C3F3F8
	v_max3_f32 v48, |v250|, |v251|, v48                        // 000000026CD8: D1D30330 04C3F7FA
	v_max3_f32 v48, |v252|, |v253|, v48                        // 000000026CE0: D1D30330 04C3FBFC
	v_max3_f32 v48, |v254|, |v255|, v48                        // 000000026CE8: D1D30330 04C3FFFE
	ds_write_b32 v8, v48 offset:20992                          // 000000026CF0: D81A5200 00003008
	v_sub_f32_e32 v52, v14, v15                                // 000000026CF8: 04681F0E
	v_cndmask_b32_e64 v52, v52, 0, s[40:41]                    // 000000026CFC: D1000034 00A10134
	v_mov_b32_e32 v14, v15                                     // 000000026D04: 7E1C030F
	v_mul_f32_e32 v52, s64, v52                                // 000000026D08: 0A686840
	v_exp_f32_e32 v52, v52                                     // 000000026D0C: 7E684134
	s_waitcnt lgkmcnt(0)                                       // 000000026D10: BF8CC07F
	s_barrier                                                  // 000000026D14: BF8A0000
	ds_read_b32 v64, v7 offset:20992                           // 000000026D18: D86C5200 40000007
	ds_read_b32 v65, v7 offset:21056                           // 000000026D20: D86C5240 41000007
	ds_read_b32 v66, v7 offset:21120                           // 000000026D28: D86C5280 42000007
	ds_read_b32 v67, v7 offset:21184                           // 000000026D30: D86C52C0 43000007
	ds_read_b32 v68, v7 offset:21248                           // 000000026D38: D86C5300 44000007
	ds_read_b32 v69, v7 offset:21312                           // 000000026D40: D86C5340 45000007
	ds_read_b32 v70, v7 offset:21376                           // 000000026D48: D86C5380 46000007
	ds_read_b32 v71, v7 offset:21440                           // 000000026D50: D86C53C0 47000007
	ds_read_b32 v72, v7 offset:21504                           // 000000026D58: D86C5400 48000007
	ds_read_b32 v73, v7 offset:21568                           // 000000026D60: D86C5440 49000007
	ds_read_b32 v74, v7 offset:21632                           // 000000026D68: D86C5480 4A000007
	ds_read_b32 v75, v7 offset:21696                           // 000000026D70: D86C54C0 4B000007
	ds_read_b32 v76, v7 offset:21760                           // 000000026D78: D86C5500 4C000007
	ds_read_b32 v77, v7 offset:21824                           // 000000026D80: D86C5540 4D000007
	ds_read_b32 v78, v7 offset:21888                           // 000000026D88: D86C5580 4E000007
	ds_read_b32 v79, v7 offset:21952                           // 000000026D90: D86C55C0 4F000007
	v_mul_f32_e32 v41, v52, v41                                // 000000026D98: 0A525334
	v_mov_b32_e32 v15, v160                                    // 000000026D9C: 7E1E03A0
	v_add_f32_e32 v15, v161, v15                               // 000000026DA0: 021E1FA1
	v_add_f32_e32 v15, v162, v15                               // 000000026DA4: 021E1FA2
	v_add_f32_e32 v15, v163, v15                               // 000000026DA8: 021E1FA3
	v_add_f32_e32 v15, v164, v15                               // 000000026DAC: 021E1FA4
	v_add_f32_e32 v15, v165, v15                               // 000000026DB0: 021E1FA5
	v_add_f32_e32 v15, v166, v15                               // 000000026DB4: 021E1FA6
	v_add_f32_e32 v15, v167, v15                               // 000000026DB8: 021E1FA7
	v_add_f32_e32 v15, v168, v15                               // 000000026DBC: 021E1FA8
	v_add_f32_e32 v15, v169, v15                               // 000000026DC0: 021E1FA9
	v_add_f32_e32 v15, v170, v15                               // 000000026DC4: 021E1FAA
	v_add_f32_e32 v15, v171, v15                               // 000000026DC8: 021E1FAB
	v_add_f32_e32 v15, v172, v15                               // 000000026DCC: 021E1FAC
	v_add_f32_e32 v15, v173, v15                               // 000000026DD0: 021E1FAD
	v_add_f32_e32 v15, v174, v15                               // 000000026DD4: 021E1FAE
	v_add_f32_e32 v15, v175, v15                               // 000000026DD8: 021E1FAF
	v_add_f32_e32 v41, v15, v41                                // 000000026DDC: 0252530F
	s_waitcnt lgkmcnt(0)                                       // 000000026DE0: BF8CC07F
	v_max3_f32 v48, |v64|, |v65|, v48                          // 000000026DE4: D1D30330 04C28340
	v_max3_f32 v48, |v66|, |v67|, v48                          // 000000026DEC: D1D30330 04C28742
	v_max3_f32 v48, |v68|, |v69|, v48                          // 000000026DF4: D1D30330 04C28B44
	v_max3_f32 v48, |v70|, |v71|, v48                          // 000000026DFC: D1D30330 04C28F46
	v_max3_f32 v48, |v72|, |v73|, v48                          // 000000026E04: D1D30330 04C29348
	v_max3_f32 v48, |v74|, |v75|, v48                          // 000000026E0C: D1D30330 04C2974A
	v_max3_f32 v48, |v76|, |v77|, v48                          // 000000026E14: D1D30330 04C29B4C
	v_max3_f32 v48, |v78|, |v79|, v48                          // 000000026E1C: D1D30330 04C29F4E
	s_nop 2                                                    // 000000026E24: BF800002
	v_rcp_f32_e32 v48, v48                                     // 000000026E28: 7E604530
	s_nop 1                                                    // 000000026E2C: BF800001
	v_mul_f32_e32 v48, 0x42fe0000, v48                         // 000000026E30: 0A6060FF 42FE0000
	v_mul_f32_e32 v160, v48, v240                              // 000000026E38: 0B41E130
	v_mul_f32_e32 v161, v48, v241                              // 000000026E3C: 0B43E330
	v_mul_f32_e32 v162, v48, v242                              // 000000026E40: 0B45E530
	v_mul_f32_e32 v163, v48, v243                              // 000000026E44: 0B47E730
	v_mul_f32_e32 v164, v48, v244                              // 000000026E48: 0B49E930
	v_mul_f32_e32 v165, v48, v245                              // 000000026E4C: 0B4BEB30
	v_mul_f32_e32 v166, v48, v246                              // 000000026E50: 0B4DED30
	v_mul_f32_e32 v167, v48, v247                              // 000000026E54: 0B4FEF30
	v_mul_f32_e32 v168, v48, v248                              // 000000026E58: 0B51F130
	v_mul_f32_e32 v169, v48, v249                              // 000000026E5C: 0B53F330
	v_mul_f32_e32 v170, v48, v250                              // 000000026E60: 0B55F530
	v_mul_f32_e32 v171, v48, v251                              // 000000026E64: 0B57F730
	v_mul_f32_e32 v172, v48, v252                              // 000000026E68: 0B59F930
	v_mul_f32_e32 v173, v48, v253                              // 000000026E6C: 0B5BFB30
	v_mul_f32_e32 v174, v48, v254                              // 000000026E70: 0B5DFD30
	v_mul_f32_e32 v175, v48, v255                              // 000000026E74: 0B5FFF30
	v_cvt_i32_f32_e32 v160, v160                               // 000000026E78: 7F4011A0
	v_cvt_i32_f32_e32 v161, v161                               // 000000026E7C: 7F4211A1
	v_cvt_i32_f32_e32 v162, v162                               // 000000026E80: 7F4411A2
	v_cvt_i32_f32_e32 v163, v163                               // 000000026E84: 7F4611A3
	v_cvt_i32_f32_e32 v164, v164                               // 000000026E88: 7F4811A4
	v_cvt_i32_f32_e32 v165, v165                               // 000000026E8C: 7F4A11A5
	v_cvt_i32_f32_e32 v166, v166                               // 000000026E90: 7F4C11A6
	v_cvt_i32_f32_e32 v167, v167                               // 000000026E94: 7F4E11A7
	v_cvt_i32_f32_e32 v168, v168                               // 000000026E98: 7F5011A8
	v_cvt_i32_f32_e32 v169, v169                               // 000000026E9C: 7F5211A9
	v_cvt_i32_f32_e32 v170, v170                               // 000000026EA0: 7F5411AA
	v_cvt_i32_f32_e32 v171, v171                               // 000000026EA4: 7F5611AB
	v_cvt_i32_f32_e32 v172, v172                               // 000000026EA8: 7F5811AC
	v_cvt_i32_f32_e32 v173, v173                               // 000000026EAC: 7F5A11AD
	v_cvt_i32_f32_e32 v174, v174                               // 000000026EB0: 7F5C11AE
	v_cvt_i32_f32_e32 v175, v175                               // 000000026EB4: 7F5E11AF
	v_perm_b32 v160, v161, v160, s53                           // 000000026EB8: D1ED00A0 00D741A1
	v_perm_b32 v160, v162, v160, s54                           // 000000026EC0: D1ED00A0 00DB41A2
	v_perm_b32 v160, v163, v160, s55                           // 000000026EC8: D1ED00A0 00DF41A3
	v_perm_b32 v161, v165, v164, s53                           // 000000026ED0: D1ED00A1 00D749A5
	v_perm_b32 v161, v166, v161, s54                           // 000000026ED8: D1ED00A1 00DB43A6
	v_perm_b32 v161, v167, v161, s55                           // 000000026EE0: D1ED00A1 00DF43A7
	v_perm_b32 v162, v169, v168, s53                           // 000000026EE8: D1ED00A2 00D751A9
	v_perm_b32 v162, v170, v162, s54                           // 000000026EF0: D1ED00A2 00DB45AA
	v_perm_b32 v162, v171, v162, s55                           // 000000026EF8: D1ED00A2 00DF45AB
	v_perm_b32 v163, v173, v172, s53                           // 000000026F00: D1ED00A3 00D759AD
	v_perm_b32 v163, v174, v163, s54                           // 000000026F08: D1ED00A3 00DB47AE
	v_perm_b32 v163, v175, v163, s55                           // 000000026F10: D1ED00A3 00DF47AF
	ds_write_b32 v10, v160 offset:37376                        // 000000026F18: D81A9200 0000A00A
	ds_write_b32 v10, v161 offset:38400                        // 000000026F20: D81A9600 0000A10A
	ds_write_b32 v10, v162 offset:39424                        // 000000026F28: D81A9A00 0000A20A
	ds_write_b32 v10, v163 offset:40448                        // 000000026F30: D81A9E00 0000A30A
	v_add_f32_e32 v232, v232, v200                             // 000000026F38: 03D191E8
	v_add_f32_e32 v233, v233, v201                             // 000000026F3C: 03D393E9
	v_add_f32_e32 v234, v234, v202                             // 000000026F40: 03D595EA
	v_add_f32_e32 v235, v235, v203                             // 000000026F44: 03D797EB
	v_add_f32_e32 v236, v236, v204                             // 000000026F48: 03D999EC
	v_add_f32_e32 v237, v237, v205                             // 000000026F4C: 03DB9BED
	v_add_f32_e32 v238, v238, v206                             // 000000026F50: 03DD9DEE
	v_add_f32_e32 v239, v239, v207                             // 000000026F54: 03DF9FEF
	v_rcp_f32_e32 v47, v48                                     // 000000026F58: 7E5E4530
	s_waitcnt lgkmcnt(0)                                       // 000000026F5C: BF8CC07F
	s_barrier                                                  // 000000026F60: BF8A0000
	ds_read_b64 v[160:161], v9 offset:37376                    // 000000026F64: D8EC9200 A0000009
	ds_read_b64 v[162:163], v9 offset:37504                    // 000000026F6C: D8EC9280 A2000009
	ds_read_b64 v[164:165], v9 offset:38400                    // 000000026F74: D8EC9600 A4000009
	ds_read_b64 v[166:167], v9 offset:38528                    // 000000026F7C: D8EC9680 A6000009
	ds_read_b64 v[168:169], v9 offset:39424                    // 000000026F84: D8EC9A00 A8000009
	ds_read_b64 v[170:171], v9 offset:39552                    // 000000026F8C: D8EC9A80 AA000009
	ds_read_b64 v[172:173], v9 offset:40448                    // 000000026F94: D8EC9E00 AC000009
	ds_read_b64 v[174:175], v9 offset:40576                    // 000000026F9C: D8EC9E80 AE000009
	s_waitcnt vmcnt(0)                                         // 000000026FA4: BF8C0F70
	s_barrier                                                  // 000000026FA8: BF8A0000
	v_mfma_i32_16x16x32_i8 v[176:179], a[64:65], v[112:113], 0 // 000000026FAC: D3D700B0 0A02E140
	v_mfma_i32_16x16x32_i8 v[176:179], a[66:67], v[114:115], v[176:179]// 000000026FB4: D3D700B0 0EC2E542
	v_mfma_i32_16x16x32_i8 v[176:179], a[68:69], v[116:117], v[176:179]// 000000026FBC: D3D700B0 0EC2E944
	v_mfma_i32_16x16x32_i8 v[176:179], a[70:71], v[118:119], v[176:179]// 000000026FC4: D3D700B0 0EC2ED46
	v_mfma_i32_16x16x32_i8 v[176:179], a[72:73], v[120:121], v[176:179]// 000000026FCC: D3D700B0 0EC2F148
	v_mfma_i32_16x16x32_i8 v[176:179], a[74:75], v[122:123], v[176:179]// 000000026FD4: D3D700B0 0EC2F54A
	v_mfma_i32_16x16x32_i8 v[176:179], a[76:77], v[124:125], v[176:179]// 000000026FDC: D3D700B0 0EC2F94C
	v_mfma_i32_16x16x32_i8 v[176:179], a[78:79], v[126:127], v[176:179]// 000000026FE4: D3D700B0 0EC2FD4E
	v_mfma_i32_16x16x32_i8 v[180:183], a[80:81], v[112:113], 0 // 000000026FEC: D3D700B4 0A02E150
	v_mfma_i32_16x16x32_i8 v[180:183], a[82:83], v[114:115], v[180:183]// 000000026FF4: D3D700B4 0ED2E552
	v_mfma_i32_16x16x32_i8 v[180:183], a[84:85], v[116:117], v[180:183]// 000000026FFC: D3D700B4 0ED2E954
	v_mfma_i32_16x16x32_i8 v[180:183], a[86:87], v[118:119], v[180:183]// 000000027004: D3D700B4 0ED2ED56
	v_mfma_i32_16x16x32_i8 v[180:183], a[88:89], v[120:121], v[180:183]// 00000002700C: D3D700B4 0ED2F158
	v_mfma_i32_16x16x32_i8 v[180:183], a[90:91], v[122:123], v[180:183]// 000000027014: D3D700B4 0ED2F55A
	v_mfma_i32_16x16x32_i8 v[180:183], a[92:93], v[124:125], v[180:183]// 00000002701C: D3D700B4 0ED2F95C
	v_mfma_i32_16x16x32_i8 v[180:183], a[94:95], v[126:127], v[180:183]// 000000027024: D3D700B4 0ED2FD5E
	v_mfma_i32_16x16x32_i8 v[184:187], a[64:65], v[128:129], 0 // 00000002702C: D3D700B8 0A030140
	v_mfma_i32_16x16x32_i8 v[184:187], a[66:67], v[130:131], v[184:187]// 000000027034: D3D700B8 0EE30542
	v_mfma_i32_16x16x32_i8 v[184:187], a[68:69], v[132:133], v[184:187]// 00000002703C: D3D700B8 0EE30944
	v_mfma_i32_16x16x32_i8 v[184:187], a[70:71], v[134:135], v[184:187]// 000000027044: D3D700B8 0EE30D46
	v_mfma_i32_16x16x32_i8 v[184:187], a[72:73], v[136:137], v[184:187]// 00000002704C: D3D700B8 0EE31148
	v_mfma_i32_16x16x32_i8 v[184:187], a[74:75], v[138:139], v[184:187]// 000000027054: D3D700B8 0EE3154A
	v_mfma_i32_16x16x32_i8 v[184:187], a[76:77], v[140:141], v[184:187]// 00000002705C: D3D700B8 0EE3194C
	v_mfma_i32_16x16x32_i8 v[184:187], a[78:79], v[142:143], v[184:187]// 000000027064: D3D700B8 0EE31D4E
	v_mfma_i32_16x16x32_i8 v[188:191], a[80:81], v[128:129], 0 // 00000002706C: D3D700BC 0A030150
	v_mfma_i32_16x16x32_i8 v[188:191], a[82:83], v[130:131], v[188:191]// 000000027074: D3D700BC 0EF30552
	v_mfma_i32_16x16x32_i8 v[188:191], a[84:85], v[132:133], v[188:191]// 00000002707C: D3D700BC 0EF30954
	v_mfma_i32_16x16x32_i8 v[188:191], a[86:87], v[134:135], v[188:191]// 000000027084: D3D700BC 0EF30D56
	v_mfma_i32_16x16x32_i8 v[188:191], a[88:89], v[136:137], v[188:191]// 00000002708C: D3D700BC 0EF31158
	v_mfma_i32_16x16x32_i8 v[188:191], a[90:91], v[138:139], v[188:191]// 000000027094: D3D700BC 0EF3155A
	v_mfma_i32_16x16x32_i8 v[188:191], a[92:93], v[140:141], v[188:191]// 00000002709C: D3D700BC 0EF3195C
	v_mfma_i32_16x16x32_i8 v[188:191], a[94:95], v[142:143], v[188:191]// 0000000270A4: D3D700BC 0EF31D5E
	v_mfma_i32_16x16x32_i8 v[192:195], a[64:65], v[144:145], 0 // 0000000270AC: D3D700C0 0A032140
	v_mfma_i32_16x16x32_i8 v[192:195], a[66:67], v[146:147], v[192:195]// 0000000270B4: D3D700C0 0F032542
	v_mfma_i32_16x16x32_i8 v[192:195], a[68:69], v[148:149], v[192:195]// 0000000270BC: D3D700C0 0F032944
	v_mfma_i32_16x16x32_i8 v[192:195], a[70:71], v[150:151], v[192:195]// 0000000270C4: D3D700C0 0F032D46
	v_mfma_i32_16x16x32_i8 v[192:195], a[72:73], v[152:153], v[192:195]// 0000000270CC: D3D700C0 0F033148
	v_mfma_i32_16x16x32_i8 v[192:195], a[74:75], v[154:155], v[192:195]// 0000000270D4: D3D700C0 0F03354A
	v_mfma_i32_16x16x32_i8 v[192:195], a[76:77], v[156:157], v[192:195]// 0000000270DC: D3D700C0 0F03394C
	v_mfma_i32_16x16x32_i8 v[192:195], a[78:79], v[158:159], v[192:195]// 0000000270E4: D3D700C0 0F033D4E
	v_mfma_i32_16x16x32_i8 v[196:199], a[80:81], v[144:145], 0 // 0000000270EC: D3D700C4 0A032150
	v_mfma_i32_16x16x32_i8 v[196:199], a[82:83], v[146:147], v[196:199]// 0000000270F4: D3D700C4 0F132552
	v_mfma_i32_16x16x32_i8 v[196:199], a[84:85], v[148:149], v[196:199]// 0000000270FC: D3D700C4 0F132954
	v_mfma_i32_16x16x32_i8 v[196:199], a[86:87], v[150:151], v[196:199]// 000000027104: D3D700C4 0F132D56
	v_mfma_i32_16x16x32_i8 v[196:199], a[88:89], v[152:153], v[196:199]// 00000002710C: D3D700C4 0F133158
	v_mfma_i32_16x16x32_i8 v[196:199], a[90:91], v[154:155], v[196:199]// 000000027114: D3D700C4 0F13355A
	v_mfma_i32_16x16x32_i8 v[196:199], a[92:93], v[156:157], v[196:199]// 00000002711C: D3D700C4 0F13395C
	v_mfma_i32_16x16x32_i8 v[196:199], a[94:95], v[158:159], v[196:199]// 000000027124: D3D700C4 0F133D5E
	v_mfma_i32_16x16x32_i8 v[200:203], a[64:65], v[160:161], 0 // 00000002712C: D3D700C8 0A034140
	v_mfma_i32_16x16x32_i8 v[200:203], a[66:67], v[162:163], v[200:203]// 000000027134: D3D700C8 0F234542
	v_mfma_i32_16x16x32_i8 v[200:203], a[68:69], v[164:165], v[200:203]// 00000002713C: D3D700C8 0F234944
	v_mfma_i32_16x16x32_i8 v[200:203], a[70:71], v[166:167], v[200:203]// 000000027144: D3D700C8 0F234D46
	v_mfma_i32_16x16x32_i8 v[200:203], a[72:73], v[168:169], v[200:203]// 00000002714C: D3D700C8 0F235148
	v_mfma_i32_16x16x32_i8 v[200:203], a[74:75], v[170:171], v[200:203]// 000000027154: D3D700C8 0F23554A
	v_mfma_i32_16x16x32_i8 v[200:203], a[76:77], v[172:173], v[200:203]// 00000002715C: D3D700C8 0F23594C
	v_mfma_i32_16x16x32_i8 v[200:203], a[78:79], v[174:175], v[200:203]// 000000027164: D3D700C8 0F235D4E
	v_mfma_i32_16x16x32_i8 v[204:207], a[80:81], v[160:161], 0 // 00000002716C: D3D700CC 0A034150
	v_mfma_i32_16x16x32_i8 v[204:207], a[82:83], v[162:163], v[204:207]// 000000027174: D3D700CC 0F334552
	v_mfma_i32_16x16x32_i8 v[204:207], a[84:85], v[164:165], v[204:207]// 00000002717C: D3D700CC 0F334954
	v_mfma_i32_16x16x32_i8 v[204:207], a[86:87], v[166:167], v[204:207]// 000000027184: D3D700CC 0F334D56
	v_mfma_i32_16x16x32_i8 v[204:207], a[88:89], v[168:169], v[204:207]// 00000002718C: D3D700CC 0F335158
	v_mfma_i32_16x16x32_i8 v[204:207], a[90:91], v[170:171], v[204:207]// 000000027194: D3D700CC 0F33555A
	v_mfma_i32_16x16x32_i8 v[204:207], a[92:93], v[172:173], v[204:207]// 00000002719C: D3D700CC 0F33595C
	v_mfma_i32_16x16x32_i8 v[204:207], a[94:95], v[174:175], v[204:207]// 0000000271A4: D3D700CC 0F335D5E
	s_nop 4                                                    // 0000000271AC: BF800004
	s_branch label_9E4F                                        // 0000000271B0: BF820A62

00000000000271b4 <label_93ED>:
	s_waitcnt vmcnt(8) lgkmcnt(0)                              // 0000000271B4: BF8C0078
	s_barrier                                                  // 0000000271B8: BF8A0000
	v_mfma_i32_16x16x32_i8 v[112:115], a[32:33], v[80:81], 0   // 0000000271BC: D3D70070 0A02A120
	v_mfma_i32_16x16x32_i8 v[112:115], a[34:35], v[82:83], v[112:115]// 0000000271C4: D3D70070 0DC2A522
	v_mfma_i32_16x16x32_i8 v[112:115], a[36:37], v[84:85], v[112:115]// 0000000271CC: D3D70070 0DC2A924
	v_mfma_i32_16x16x32_i8 v[112:115], a[38:39], v[86:87], v[112:115]// 0000000271D4: D3D70070 0DC2AD26
	v_mfma_i32_16x16x32_i8 v[116:119], a[40:41], v[80:81], 0   // 0000000271DC: D3D70074 0A02A128
	v_mfma_i32_16x16x32_i8 v[116:119], a[42:43], v[82:83], v[116:119]// 0000000271E4: D3D70074 0DD2A52A
	v_mfma_i32_16x16x32_i8 v[116:119], a[44:45], v[84:85], v[116:119]// 0000000271EC: D3D70074 0DD2A92C
	v_mfma_i32_16x16x32_i8 v[116:119], a[46:47], v[86:87], v[116:119]// 0000000271F4: D3D70074 0DD2AD2E
	v_mfma_i32_16x16x32_i8 v[120:123], a[48:49], v[80:81], 0   // 0000000271FC: D3D70078 0A02A130
	v_mfma_i32_16x16x32_i8 v[120:123], a[50:51], v[82:83], v[120:123]// 000000027204: D3D70078 0DE2A532
	v_mfma_i32_16x16x32_i8 v[120:123], a[52:53], v[84:85], v[120:123]// 00000002720C: D3D70078 0DE2A934
	v_mfma_i32_16x16x32_i8 v[120:123], a[54:55], v[86:87], v[120:123]// 000000027214: D3D70078 0DE2AD36
	v_mfma_i32_16x16x32_i8 v[124:127], a[56:57], v[80:81], 0   // 00000002721C: D3D7007C 0A02A138
	v_mfma_i32_16x16x32_i8 v[124:127], a[58:59], v[82:83], v[124:127]// 000000027224: D3D7007C 0DF2A53A
	v_mfma_i32_16x16x32_i8 v[124:127], a[60:61], v[84:85], v[124:127]// 00000002722C: D3D7007C 0DF2A93C
	v_mfma_i32_16x16x32_i8 v[124:127], a[62:63], v[86:87], v[124:127]// 000000027234: D3D7007C 0DF2AD3E
	v_mfma_i32_16x16x32_i8 v[128:131], a[32:33], v[88:89], 0   // 00000002723C: D3D70080 0A02B120
	v_mfma_i32_16x16x32_i8 v[128:131], a[34:35], v[90:91], v[128:131]// 000000027244: D3D70080 0E02B522
	v_mfma_i32_16x16x32_i8 v[128:131], a[36:37], v[92:93], v[128:131]// 00000002724C: D3D70080 0E02B924
	v_mfma_i32_16x16x32_i8 v[128:131], a[38:39], v[94:95], v[128:131]// 000000027254: D3D70080 0E02BD26
	v_mfma_i32_16x16x32_i8 v[132:135], a[40:41], v[88:89], 0   // 00000002725C: D3D70084 0A02B128
	v_mfma_i32_16x16x32_i8 v[132:135], a[42:43], v[90:91], v[132:135]// 000000027264: D3D70084 0E12B52A
	v_mfma_i32_16x16x32_i8 v[132:135], a[44:45], v[92:93], v[132:135]// 00000002726C: D3D70084 0E12B92C
	v_mfma_i32_16x16x32_i8 v[132:135], a[46:47], v[94:95], v[132:135]// 000000027274: D3D70084 0E12BD2E
	v_mfma_i32_16x16x32_i8 v[136:139], a[48:49], v[88:89], 0   // 00000002727C: D3D70088 0A02B130
	v_mfma_i32_16x16x32_i8 v[136:139], a[50:51], v[90:91], v[136:139]// 000000027284: D3D70088 0E22B532
	v_mfma_i32_16x16x32_i8 v[136:139], a[52:53], v[92:93], v[136:139]// 00000002728C: D3D70088 0E22B934
	v_mfma_i32_16x16x32_i8 v[136:139], a[54:55], v[94:95], v[136:139]// 000000027294: D3D70088 0E22BD36
	v_mfma_i32_16x16x32_i8 v[140:143], a[56:57], v[88:89], 0   // 00000002729C: D3D7008C 0A02B138
	v_mfma_i32_16x16x32_i8 v[140:143], a[58:59], v[90:91], v[140:143]// 0000000272A4: D3D7008C 0E32B53A
	v_mfma_i32_16x16x32_i8 v[140:143], a[60:61], v[92:93], v[140:143]// 0000000272AC: D3D7008C 0E32B93C
	v_mfma_i32_16x16x32_i8 v[140:143], a[62:63], v[94:95], v[140:143]// 0000000272B4: D3D7008C 0E32BD3E
	v_mfma_i32_16x16x32_i8 v[144:147], a[32:33], v[96:97], 0   // 0000000272BC: D3D70090 0A02C120
	v_mfma_i32_16x16x32_i8 v[144:147], a[34:35], v[98:99], v[144:147]// 0000000272C4: D3D70090 0E42C522
	v_mfma_i32_16x16x32_i8 v[144:147], a[36:37], v[100:101], v[144:147]// 0000000272CC: D3D70090 0E42C924
	v_mfma_i32_16x16x32_i8 v[144:147], a[38:39], v[102:103], v[144:147]// 0000000272D4: D3D70090 0E42CD26
	v_mfma_i32_16x16x32_i8 v[148:151], a[40:41], v[96:97], 0   // 0000000272DC: D3D70094 0A02C128
	v_mfma_i32_16x16x32_i8 v[148:151], a[42:43], v[98:99], v[148:151]// 0000000272E4: D3D70094 0E52C52A
	v_mfma_i32_16x16x32_i8 v[148:151], a[44:45], v[100:101], v[148:151]// 0000000272EC: D3D70094 0E52C92C
	v_mfma_i32_16x16x32_i8 v[148:151], a[46:47], v[102:103], v[148:151]// 0000000272F4: D3D70094 0E52CD2E
	v_mfma_i32_16x16x32_i8 v[152:155], a[48:49], v[96:97], 0   // 0000000272FC: D3D70098 0A02C130
	v_mfma_i32_16x16x32_i8 v[152:155], a[50:51], v[98:99], v[152:155]// 000000027304: D3D70098 0E62C532
	v_mfma_i32_16x16x32_i8 v[152:155], a[52:53], v[100:101], v[152:155]// 00000002730C: D3D70098 0E62C934
	v_mfma_i32_16x16x32_i8 v[152:155], a[54:55], v[102:103], v[152:155]// 000000027314: D3D70098 0E62CD36
	v_mfma_i32_16x16x32_i8 v[156:159], a[56:57], v[96:97], 0   // 00000002731C: D3D7009C 0A02C138
	v_mfma_i32_16x16x32_i8 v[156:159], a[58:59], v[98:99], v[156:159]// 000000027324: D3D7009C 0E72C53A
	v_mfma_i32_16x16x32_i8 v[156:159], a[60:61], v[100:101], v[156:159]// 00000002732C: D3D7009C 0E72C93C
	v_mfma_i32_16x16x32_i8 v[156:159], a[62:63], v[102:103], v[156:159]// 000000027334: D3D7009C 0E72CD3E
	v_mfma_i32_16x16x32_i8 v[160:163], a[32:33], v[104:105], 0 // 00000002733C: D3D700A0 0A02D120
	v_mfma_i32_16x16x32_i8 v[160:163], a[34:35], v[106:107], v[160:163]// 000000027344: D3D700A0 0E82D522
	v_mfma_i32_16x16x32_i8 v[160:163], a[36:37], v[108:109], v[160:163]// 00000002734C: D3D700A0 0E82D924
	v_mfma_i32_16x16x32_i8 v[160:163], a[38:39], v[110:111], v[160:163]// 000000027354: D3D700A0 0E82DD26
	v_mfma_i32_16x16x32_i8 v[164:167], a[40:41], v[104:105], 0 // 00000002735C: D3D700A4 0A02D128
	v_mfma_i32_16x16x32_i8 v[164:167], a[42:43], v[106:107], v[164:167]// 000000027364: D3D700A4 0E92D52A
	v_mfma_i32_16x16x32_i8 v[164:167], a[44:45], v[108:109], v[164:167]// 00000002736C: D3D700A4 0E92D92C
	v_mfma_i32_16x16x32_i8 v[164:167], a[46:47], v[110:111], v[164:167]// 000000027374: D3D700A4 0E92DD2E
	v_mfma_i32_16x16x32_i8 v[168:171], a[48:49], v[104:105], 0 // 00000002737C: D3D700A8 0A02D130
	v_mfma_i32_16x16x32_i8 v[168:171], a[50:51], v[106:107], v[168:171]// 000000027384: D3D700A8 0EA2D532
	v_mfma_i32_16x16x32_i8 v[168:171], a[52:53], v[108:109], v[168:171]// 00000002738C: D3D700A8 0EA2D934
	v_mfma_i32_16x16x32_i8 v[168:171], a[54:55], v[110:111], v[168:171]// 000000027394: D3D700A8 0EA2DD36
	v_mfma_i32_16x16x32_i8 v[172:175], a[56:57], v[104:105], 0 // 00000002739C: D3D700AC 0A02D138
	v_mfma_i32_16x16x32_i8 v[172:175], a[58:59], v[106:107], v[172:175]// 0000000273A4: D3D700AC 0EB2D53A
	v_mfma_i32_16x16x32_i8 v[172:175], a[60:61], v[108:109], v[172:175]// 0000000273AC: D3D700AC 0EB2D93C
	v_mfma_i32_16x16x32_i8 v[172:175], a[62:63], v[110:111], v[172:175]// 0000000273B4: D3D700AC 0EB2DD3E
	v_mov_b32_dpp v64, v43 row_shr:4 row_mask:0xf bank_mask:0xf// 0000000273BC: 7E8002FA FF01142B
	v_mov_b32_dpp v65, v43 row_shl:4 row_mask:0xf bank_mask:0xf// 0000000273C4: 7E8202FA FF01042B
	v_cndmask_b32_e64 v248, v43, v64, s[44:45]                 // 0000000273CC: D10000F8 00B2812B
	v_cndmask_b32_e64 v249, v65, v43, s[44:45]                 // 0000000273D4: D10000F9 00B25741
	v_mov_b32_dpp v64, v248 row_shr:8 row_mask:0xf bank_mask:0xf// 0000000273DC: 7E8002FA FF0118F8
	v_mov_b32_dpp v65, v248 row_shl:8 row_mask:0xf bank_mask:0xf// 0000000273E4: 7E8202FA FF0108F8
	v_mov_b32_dpp v66, v249 row_shr:8 row_mask:0xf bank_mask:0xf// 0000000273EC: 7E8402FA FF0118F9
	v_mov_b32_dpp v67, v249 row_shl:8 row_mask:0xf bank_mask:0xf// 0000000273F4: 7E8602FA FF0108F9
	v_mov_b32_e32 v68, v248                                    // 0000000273FC: 7E8803F8
	v_mov_b32_e32 v69, v249                                    // 000000027400: 7E8A03F9
	v_cndmask_b32_e64 v248, v68, v64, s[42:43]                 // 000000027404: D10000F8 00AA8144
	v_cndmask_b32_e64 v250, v68, v65, s[78:79]                 // 00000002740C: D10000FA 013A8344
	v_cndmask_b32_e64 v249, v69, v66, s[42:43]                 // 000000027414: D10000F9 00AA8545
	v_cndmask_b32_e64 v251, v69, v67, s[78:79]                 // 00000002741C: D10000FB 013A8745
	v_mov_b32_dpp v64, v58 row_shr:4 row_mask:0xf bank_mask:0xf// 000000027424: 7E8002FA FF01143A
	v_mov_b32_dpp v65, v58 row_shl:4 row_mask:0xf bank_mask:0xf// 00000002742C: 7E8202FA FF01043A
	v_cndmask_b32_e64 v252, v58, v64, s[44:45]                 // 000000027434: D10000FC 00B2813A
	v_cndmask_b32_e64 v253, v65, v58, s[44:45]                 // 00000002743C: D10000FD 00B27541
	v_mov_b32_dpp v64, v252 row_shr:8 row_mask:0xf bank_mask:0xf// 000000027444: 7E8002FA FF0118FC
	v_mov_b32_dpp v65, v252 row_shl:8 row_mask:0xf bank_mask:0xf// 00000002744C: 7E8202FA FF0108FC
	v_mov_b32_dpp v66, v253 row_shr:8 row_mask:0xf bank_mask:0xf// 000000027454: 7E8402FA FF0118FD
	v_mov_b32_dpp v67, v253 row_shl:8 row_mask:0xf bank_mask:0xf// 00000002745C: 7E8602FA FF0108FD
	v_mov_b32_e32 v68, v252                                    // 000000027464: 7E8803FC
	v_mov_b32_e32 v69, v253                                    // 000000027468: 7E8A03FD
	v_cndmask_b32_e64 v252, v68, v64, s[42:43]                 // 00000002746C: D10000FC 00AA8144
	v_cndmask_b32_e64 v254, v68, v65, s[78:79]                 // 000000027474: D10000FE 013A8344
	v_cndmask_b32_e64 v253, v69, v66, s[42:43]                 // 00000002747C: D10000FD 00AA8545
	v_cndmask_b32_e64 v255, v69, v67, s[78:79]                 // 000000027484: D10000FF 013A8745
	v_cvt_f32_i32_e32 v112, v112                               // 00000002748C: 7EE00B70
	v_cvt_f32_i32_e32 v113, v113                               // 000000027490: 7EE20B71
	v_cvt_f32_i32_e32 v114, v114                               // 000000027494: 7EE40B72
	v_cvt_f32_i32_e32 v115, v115                               // 000000027498: 7EE60B73
	v_cvt_f32_i32_e32 v116, v116                               // 00000002749C: 7EE80B74
	v_cvt_f32_i32_e32 v117, v117                               // 0000000274A0: 7EEA0B75
	v_cvt_f32_i32_e32 v118, v118                               // 0000000274A4: 7EEC0B76
	v_cvt_f32_i32_e32 v119, v119                               // 0000000274A8: 7EEE0B77
	v_cvt_f32_i32_e32 v120, v120                               // 0000000274AC: 7EF00B78
	v_cvt_f32_i32_e32 v121, v121                               // 0000000274B0: 7EF20B79
	v_cvt_f32_i32_e32 v122, v122                               // 0000000274B4: 7EF40B7A
	v_cvt_f32_i32_e32 v123, v123                               // 0000000274B8: 7EF60B7B
	v_cvt_f32_i32_e32 v124, v124                               // 0000000274BC: 7EF80B7C
	v_cvt_f32_i32_e32 v125, v125                               // 0000000274C0: 7EFA0B7D
	v_cvt_f32_i32_e32 v126, v126                               // 0000000274C4: 7EFC0B7E
	v_cvt_f32_i32_e32 v127, v127                               // 0000000274C8: 7EFE0B7F
	v_mul_f32_e32 v112, v18, v112                              // 0000000274CC: 0AE0E112
	v_mul_f32_e32 v113, v18, v113                              // 0000000274D0: 0AE2E312
	v_mul_f32_e32 v114, v18, v114                              // 0000000274D4: 0AE4E512
	v_mul_f32_e32 v115, v18, v115                              // 0000000274D8: 0AE6E712
	v_mul_f32_e32 v116, v18, v116                              // 0000000274DC: 0AE8E912
	v_mul_f32_e32 v117, v18, v117                              // 0000000274E0: 0AEAEB12
	v_mul_f32_e32 v118, v18, v118                              // 0000000274E4: 0AECED12
	v_mul_f32_e32 v119, v18, v119                              // 0000000274E8: 0AEEEF12
	v_mul_f32_e32 v120, v18, v120                              // 0000000274EC: 0AF0F112
	v_mul_f32_e32 v121, v18, v121                              // 0000000274F0: 0AF2F312
	v_mul_f32_e32 v122, v18, v122                              // 0000000274F4: 0AF4F512
	v_mul_f32_e32 v123, v18, v123                              // 0000000274F8: 0AF6F712
	v_mul_f32_e32 v124, v18, v124                              // 0000000274FC: 0AF8F912
	v_mul_f32_e32 v125, v18, v125                              // 000000027500: 0AFAFB12
	v_mul_f32_e32 v126, v18, v126                              // 000000027504: 0AFCFD12
	v_mul_f32_e32 v127, v18, v127                              // 000000027508: 0AFEFF12
	v_mul_f32_dpp v112, v248, v112 quad_perm:[0,0,0,0] row_mask:0xf bank_mask:0xf// 00000002750C: 0AE0E0FA FF0000F8
	v_mul_f32_dpp v113, v248, v113 quad_perm:[1,1,1,1] row_mask:0xf bank_mask:0xf// 000000027514: 0AE2E2FA FF0055F8
	v_mul_f32_dpp v114, v248, v114 quad_perm:[2,2,2,2] row_mask:0xf bank_mask:0xf// 00000002751C: 0AE4E4FA FF00AAF8
	v_mul_f32_dpp v115, v248, v115 quad_perm:[3,3,3,3] row_mask:0xf bank_mask:0xf// 000000027524: 0AE6E6FA FF00FFF8
	v_mul_f32_dpp v116, v249, v116 quad_perm:[0,0,0,0] row_mask:0xf bank_mask:0xf// 00000002752C: 0AE8E8FA FF0000F9
	v_mul_f32_dpp v117, v249, v117 quad_perm:[1,1,1,1] row_mask:0xf bank_mask:0xf// 000000027534: 0AEAEAFA FF0055F9
	v_mul_f32_dpp v118, v249, v118 quad_perm:[2,2,2,2] row_mask:0xf bank_mask:0xf// 00000002753C: 0AECECFA FF00AAF9
	v_mul_f32_dpp v119, v249, v119 quad_perm:[3,3,3,3] row_mask:0xf bank_mask:0xf// 000000027544: 0AEEEEFA FF00FFF9
	v_mul_f32_dpp v120, v250, v120 quad_perm:[0,0,0,0] row_mask:0xf bank_mask:0xf// 00000002754C: 0AF0F0FA FF0000FA
	v_mul_f32_dpp v121, v250, v121 quad_perm:[1,1,1,1] row_mask:0xf bank_mask:0xf// 000000027554: 0AF2F2FA FF0055FA
	v_mul_f32_dpp v122, v250, v122 quad_perm:[2,2,2,2] row_mask:0xf bank_mask:0xf// 00000002755C: 0AF4F4FA FF00AAFA
	v_mul_f32_dpp v123, v250, v123 quad_perm:[3,3,3,3] row_mask:0xf bank_mask:0xf// 000000027564: 0AF6F6FA FF00FFFA
	v_mul_f32_dpp v124, v251, v124 quad_perm:[0,0,0,0] row_mask:0xf bank_mask:0xf// 00000002756C: 0AF8F8FA FF0000FB
	v_mul_f32_dpp v125, v251, v125 quad_perm:[1,1,1,1] row_mask:0xf bank_mask:0xf// 000000027574: 0AFAFAFA FF0055FB
	v_mul_f32_dpp v126, v251, v126 quad_perm:[2,2,2,2] row_mask:0xf bank_mask:0xf// 00000002757C: 0AFCFCFA FF00AAFB
	v_mul_f32_dpp v127, v251, v127 quad_perm:[3,3,3,3] row_mask:0xf bank_mask:0xf// 000000027584: 0AFEFEFA FF00FFFB
	s_and_b32 s60, s72, 0xff                                   // 00000002758C: 863CFF48 000000FF
	v_mov_b32_e32 v65, s60                                     // 000000027594: 7E82023C
	v_lshrrev_b32_e32 v240, 4, v0                              // 000000027598: 21E00084
	v_mul_i32_i24_e32 v240, 4, v240                            // 00000002759C: 0DE1E084
	s_mul_i32 s60, s7, 16                                      // 0000000275A0: 923C9007
	v_add_u32_e32 v240, s60, v240                              // 0000000275A4: 69E1E03C
	v_add_u32_e32 v241, 1, v240                                // 0000000275A8: 69E3E081
	v_add_u32_e32 v242, 2, v240                                // 0000000275AC: 69E5E082
	v_add_u32_e32 v243, 3, v240                                // 0000000275B0: 69E7E083
	v_mov_b32_e32 v64, 0xff800000                              // 0000000275B4: 7E8002FF FF800000
	v_cmp_lt_u32_e64 s[40:41], v240, v65                       // 0000000275BC: D0C90028 000283F0
	v_add_u32_e32 v240, 64, v240                               // 0000000275C4: 69E1E0C0
	s_nop 0                                                    // 0000000275C8: BF800000
	v_cndmask_b32_e64 v112, v64, v112, s[40:41]                // 0000000275CC: D1000070 00A2E140
	v_cmp_lt_u32_e64 s[40:41], v241, v65                       // 0000000275D4: D0C90028 000283F1
	v_add_u32_e32 v241, 64, v241                               // 0000000275DC: 69E3E2C0
	s_nop 0                                                    // 0000000275E0: BF800000
	v_cndmask_b32_e64 v113, v64, v113, s[40:41]                // 0000000275E4: D1000071 00A2E340
	v_cmp_lt_u32_e64 s[40:41], v242, v65                       // 0000000275EC: D0C90028 000283F2
	v_add_u32_e32 v242, 64, v242                               // 0000000275F4: 69E5E4C0
	s_nop 0                                                    // 0000000275F8: BF800000
	v_cndmask_b32_e64 v114, v64, v114, s[40:41]                // 0000000275FC: D1000072 00A2E540
	v_cmp_lt_u32_e64 s[40:41], v243, v65                       // 000000027604: D0C90028 000283F3
	v_add_u32_e32 v243, 64, v243                               // 00000002760C: 69E7E6C0
	s_nop 0                                                    // 000000027610: BF800000
	v_cndmask_b32_e64 v115, v64, v115, s[40:41]                // 000000027614: D1000073 00A2E740
	v_cmp_lt_u32_e64 s[40:41], v240, v65                       // 00000002761C: D0C90028 000283F0
	v_add_u32_e32 v240, 64, v240                               // 000000027624: 69E1E0C0
	s_nop 0                                                    // 000000027628: BF800000
	v_cndmask_b32_e64 v116, v64, v116, s[40:41]                // 00000002762C: D1000074 00A2E940
	v_cmp_lt_u32_e64 s[40:41], v241, v65                       // 000000027634: D0C90028 000283F1
	v_add_u32_e32 v241, 64, v241                               // 00000002763C: 69E3E2C0
	s_nop 0                                                    // 000000027640: BF800000
	v_cndmask_b32_e64 v117, v64, v117, s[40:41]                // 000000027644: D1000075 00A2EB40
	v_cmp_lt_u32_e64 s[40:41], v242, v65                       // 00000002764C: D0C90028 000283F2
	v_add_u32_e32 v242, 64, v242                               // 000000027654: 69E5E4C0
	s_nop 0                                                    // 000000027658: BF800000
	v_cndmask_b32_e64 v118, v64, v118, s[40:41]                // 00000002765C: D1000076 00A2ED40
	v_cmp_lt_u32_e64 s[40:41], v243, v65                       // 000000027664: D0C90028 000283F3
	v_add_u32_e32 v243, 64, v243                               // 00000002766C: 69E7E6C0
	s_nop 0                                                    // 000000027670: BF800000
	v_cndmask_b32_e64 v119, v64, v119, s[40:41]                // 000000027674: D1000077 00A2EF40
	v_cmp_lt_u32_e64 s[40:41], v240, v65                       // 00000002767C: D0C90028 000283F0
	v_add_u32_e32 v240, 64, v240                               // 000000027684: 69E1E0C0
	s_nop 0                                                    // 000000027688: BF800000
	v_cndmask_b32_e64 v120, v64, v120, s[40:41]                // 00000002768C: D1000078 00A2F140
	v_cmp_lt_u32_e64 s[40:41], v241, v65                       // 000000027694: D0C90028 000283F1
	v_add_u32_e32 v241, 64, v241                               // 00000002769C: 69E3E2C0
	s_nop 0                                                    // 0000000276A0: BF800000
	v_cndmask_b32_e64 v121, v64, v121, s[40:41]                // 0000000276A4: D1000079 00A2F340
	v_cmp_lt_u32_e64 s[40:41], v242, v65                       // 0000000276AC: D0C90028 000283F2
	v_add_u32_e32 v242, 64, v242                               // 0000000276B4: 69E5E4C0
	s_nop 0                                                    // 0000000276B8: BF800000
	v_cndmask_b32_e64 v122, v64, v122, s[40:41]                // 0000000276BC: D100007A 00A2F540
	v_cmp_lt_u32_e64 s[40:41], v243, v65                       // 0000000276C4: D0C90028 000283F3
	v_add_u32_e32 v243, 64, v243                               // 0000000276CC: 69E7E6C0
	s_nop 0                                                    // 0000000276D0: BF800000
	v_cndmask_b32_e64 v123, v64, v123, s[40:41]                // 0000000276D4: D100007B 00A2F740
	v_cmp_lt_u32_e64 s[40:41], v240, v65                       // 0000000276DC: D0C90028 000283F0
	v_add_u32_e32 v240, 64, v240                               // 0000000276E4: 69E1E0C0
	s_nop 0                                                    // 0000000276E8: BF800000
	v_cndmask_b32_e64 v124, v64, v124, s[40:41]                // 0000000276EC: D100007C 00A2F940
	v_cmp_lt_u32_e64 s[40:41], v241, v65                       // 0000000276F4: D0C90028 000283F1
	v_add_u32_e32 v241, 64, v241                               // 0000000276FC: 69E3E2C0
	s_nop 0                                                    // 000000027700: BF800000
	v_cndmask_b32_e64 v125, v64, v125, s[40:41]                // 000000027704: D100007D 00A2FB40
	v_cmp_lt_u32_e64 s[40:41], v242, v65                       // 00000002770C: D0C90028 000283F2
	v_add_u32_e32 v242, 64, v242                               // 000000027714: 69E5E4C0
	s_nop 0                                                    // 000000027718: BF800000
	v_cndmask_b32_e64 v126, v64, v126, s[40:41]                // 00000002771C: D100007E 00A2FD40
	v_cmp_lt_u32_e64 s[40:41], v243, v65                       // 000000027724: D0C90028 000283F3
	v_add_u32_e32 v243, 64, v243                               // 00000002772C: 69E7E6C0
	s_nop 0                                                    // 000000027730: BF800000
	v_cndmask_b32_e64 v127, v64, v127, s[40:41]                // 000000027734: D100007F 00A2FF40
	v_mov_b32_e32 v48, v112                                    // 00000002773C: 7E600370
	v_max3_f32 v48, v112, v113, v48                            // 000000027740: D1D30030 04C2E370
	v_max3_f32 v48, v114, v115, v48                            // 000000027748: D1D30030 04C2E772
	v_max3_f32 v48, v116, v117, v48                            // 000000027750: D1D30030 04C2EB74
	v_max3_f32 v48, v118, v119, v48                            // 000000027758: D1D30030 04C2EF76
	v_max3_f32 v48, v120, v121, v48                            // 000000027760: D1D30030 04C2F378
	v_max3_f32 v48, v122, v123, v48                            // 000000027768: D1D30030 04C2F77A
	v_max3_f32 v48, v124, v125, v48                            // 000000027770: D1D30030 04C2FB7C
	v_max3_f32 v48, v126, v127, v48                            // 000000027778: D1D30030 04C2FF7E
	ds_write_b32 v8, v48 offset:16896                          // 000000027780: D81A4200 00003008
	v_mul_u32_u24_dpp v64, v16, v54 row_newbcast:1 row_mask:0xf bank_mask:0xf// 000000027788: 10806CFA FF015110
	v_mul_u32_u24_dpp v65, v16, v54 row_newbcast:5 row_mask:0xf bank_mask:0xf// 000000027790: 10826CFA FF015510
	v_mul_u32_u24_dpp v66, v16, v54 row_newbcast:9 row_mask:0xf bank_mask:0xf// 000000027798: 10846CFA FF015910
	v_mul_u32_u24_dpp v67, v16, v54 row_newbcast:13 row_mask:0xf bank_mask:0xf// 0000000277A0: 10866CFA FF015D10
	v_add_u32_e32 v30, v64, v6                                 // 0000000277A8: 683C0D40
	v_add_u32_e32 v31, v65, v6                                 // 0000000277AC: 683E0D41
	v_add_u32_e32 v32, v66, v6                                 // 0000000277B0: 68400D42
	v_add_u32_e32 v33, v67, v6                                 // 0000000277B4: 68420D43
	v_mul_f32_e32 v208, v49, v208                              // 0000000277B8: 0BA1A131
	v_mul_f32_e32 v209, v49, v209                              // 0000000277BC: 0BA3A331
	v_mul_f32_e32 v210, v49, v210                              // 0000000277C0: 0BA5A531
	v_mul_f32_e32 v211, v49, v211                              // 0000000277C4: 0BA7A731
	v_mul_f32_e32 v212, v49, v212                              // 0000000277C8: 0BA9A931
	v_mul_f32_e32 v213, v49, v213                              // 0000000277CC: 0BABAB31
	v_mul_f32_e32 v214, v49, v214                              // 0000000277D0: 0BADAD31
	v_mul_f32_e32 v215, v49, v215                              // 0000000277D4: 0BAFAF31
	s_waitcnt lgkmcnt(0)                                       // 0000000277D8: BF8CC07F
	s_barrier                                                  // 0000000277DC: BF8A0000
	ds_read_b32 v64, v7 offset:16896                           // 0000000277E0: D86C4200 40000007
	ds_read_b32 v65, v7 offset:16960                           // 0000000277E8: D86C4240 41000007
	ds_read_b32 v66, v7 offset:17024                           // 0000000277F0: D86C4280 42000007
	ds_read_b32 v67, v7 offset:17088                           // 0000000277F8: D86C42C0 43000007
	ds_read_b32 v68, v7 offset:17152                           // 000000027800: D86C4300 44000007
	ds_read_b32 v69, v7 offset:17216                           // 000000027808: D86C4340 45000007
	ds_read_b32 v70, v7 offset:17280                           // 000000027810: D86C4380 46000007
	ds_read_b32 v71, v7 offset:17344                           // 000000027818: D86C43C0 47000007
	ds_read_b32 v72, v7 offset:17408                           // 000000027820: D86C4400 48000007
	ds_read_b32 v73, v7 offset:17472                           // 000000027828: D86C4440 49000007
	ds_read_b32 v74, v7 offset:17536                           // 000000027830: D86C4480 4A000007
	ds_read_b32 v75, v7 offset:17600                           // 000000027838: D86C44C0 4B000007
	ds_read_b32 v76, v7 offset:17664                           // 000000027840: D86C4500 4C000007
	ds_read_b32 v77, v7 offset:17728                           // 000000027848: D86C4540 4D000007
	ds_read_b32 v78, v7 offset:17792                           // 000000027850: D86C4580 4E000007
	ds_read_b32 v79, v7 offset:17856                           // 000000027858: D86C45C0 4F000007
	v_cvt_f32_i32_e32 v176, v176                               // 000000027860: 7F600BB0
	v_cvt_f32_i32_e32 v177, v177                               // 000000027864: 7F620BB1
	v_cvt_f32_i32_e32 v178, v178                               // 000000027868: 7F640BB2
	v_cvt_f32_i32_e32 v179, v179                               // 00000002786C: 7F660BB3
	v_cvt_f32_i32_e32 v180, v180                               // 000000027870: 7F680BB4
	v_cvt_f32_i32_e32 v181, v181                               // 000000027874: 7F6A0BB5
	v_cvt_f32_i32_e32 v182, v182                               // 000000027878: 7F6C0BB6
	v_cvt_f32_i32_e32 v183, v183                               // 00000002787C: 7F6E0BB7
	v_mul_f32_e32 v176, v44, v176                              // 000000027880: 0B61612C
	v_mul_f32_e32 v177, v44, v177                              // 000000027884: 0B63632C
	v_mul_f32_e32 v178, v44, v178                              // 000000027888: 0B65652C
	v_mul_f32_e32 v179, v44, v179                              // 00000002788C: 0B67672C
	v_mul_f32_e32 v180, v44, v180                              // 000000027890: 0B69692C
	v_mul_f32_e32 v181, v44, v181                              // 000000027894: 0B6B6B2C
	v_mul_f32_e32 v182, v44, v182                              // 000000027898: 0B6D6D2C
	v_mul_f32_e32 v183, v44, v183                              // 00000002789C: 0B6F6F2C
	s_waitcnt lgkmcnt(0)                                       // 0000000278A0: BF8CC07F
	v_max3_f32 v48, v64, v65, v48                              // 0000000278A4: D1D30030 04C28340
	v_max3_f32 v48, v66, v67, v48                              // 0000000278AC: D1D30030 04C28742
	v_max3_f32 v48, v68, v69, v48                              // 0000000278B4: D1D30030 04C28B44
	v_max3_f32 v48, v70, v71, v48                              // 0000000278BC: D1D30030 04C28F46
	v_max3_f32 v48, v72, v73, v48                              // 0000000278C4: D1D30030 04C29348
	v_max3_f32 v48, v74, v75, v48                              // 0000000278CC: D1D30030 04C2974A
	v_max3_f32 v48, v76, v77, v48                              // 0000000278D4: D1D30030 04C29B4C
	v_max3_f32 v48, v78, v79, v48                              // 0000000278DC: D1D30030 04C29F4E
	v_mov_b32_e32 v64, 0xff800000                              // 0000000278E4: 7E8002FF FF800000
	v_cmp_eq_u32_e64 s[40:41], v64, v11                        // 0000000278EC: D0CA0028 00021740
	s_nop 1                                                    // 0000000278F4: BF800001
	v_max_f32_e32 v15, v48, v11                                // 0000000278F8: 161E1730
	v_mul_f32_e32 v53, s64, v15                                // 0000000278FC: 0A6A1E40
	v_fma_f32 v112, v112, s64, -v53                            // 000000027900: D1CB0070 84D48170
	v_fma_f32 v113, v113, s64, -v53                            // 000000027908: D1CB0071 84D48171
	v_fma_f32 v114, v114, s64, -v53                            // 000000027910: D1CB0072 84D48172
	v_fma_f32 v115, v115, s64, -v53                            // 000000027918: D1CB0073 84D48173
	v_fma_f32 v116, v116, s64, -v53                            // 000000027920: D1CB0074 84D48174
	v_fma_f32 v117, v117, s64, -v53                            // 000000027928: D1CB0075 84D48175
	v_fma_f32 v118, v118, s64, -v53                            // 000000027930: D1CB0076 84D48176
	v_fma_f32 v119, v119, s64, -v53                            // 000000027938: D1CB0077 84D48177
	v_fma_f32 v120, v120, s64, -v53                            // 000000027940: D1CB0078 84D48178
	v_fma_f32 v121, v121, s64, -v53                            // 000000027948: D1CB0079 84D48179
	v_fma_f32 v122, v122, s64, -v53                            // 000000027950: D1CB007A 84D4817A
	v_fma_f32 v123, v123, s64, -v53                            // 000000027958: D1CB007B 84D4817B
	v_fma_f32 v124, v124, s64, -v53                            // 000000027960: D1CB007C 84D4817C
	v_fma_f32 v125, v125, s64, -v53                            // 000000027968: D1CB007D 84D4817D
	v_fma_f32 v126, v126, s64, -v53                            // 000000027970: D1CB007E 84D4817E
	v_fma_f32 v127, v127, s64, -v53                            // 000000027978: D1CB007F 84D4817F
	v_exp_f32_e32 v112, v112                                   // 000000027980: 7EE04170
	v_exp_f32_e32 v113, v113                                   // 000000027984: 7EE24171
	v_exp_f32_e32 v114, v114                                   // 000000027988: 7EE44172
	v_exp_f32_e32 v115, v115                                   // 00000002798C: 7EE64173
	v_exp_f32_e32 v116, v116                                   // 000000027990: 7EE84174
	v_exp_f32_e32 v117, v117                                   // 000000027994: 7EEA4175
	v_exp_f32_e32 v118, v118                                   // 000000027998: 7EEC4176
	v_exp_f32_e32 v119, v119                                   // 00000002799C: 7EEE4177
	v_exp_f32_e32 v120, v120                                   // 0000000279A0: 7EF04178
	v_exp_f32_e32 v121, v121                                   // 0000000279A4: 7EF24179
	v_exp_f32_e32 v122, v122                                   // 0000000279A8: 7EF4417A
	v_exp_f32_e32 v123, v123                                   // 0000000279AC: 7EF6417B
	v_exp_f32_e32 v124, v124                                   // 0000000279B0: 7EF8417C
	v_exp_f32_e32 v125, v125                                   // 0000000279B4: 7EFA417D
	v_exp_f32_e32 v126, v126                                   // 0000000279B8: 7EFC417E
	v_exp_f32_e32 v127, v127                                   // 0000000279BC: 7EFE417F
	v_mul_f32_dpp v240, v252, v112 quad_perm:[0,0,0,0] row_mask:0xf bank_mask:0xf// 0000000279C0: 0BE0E0FA FF0000FC
	v_mul_f32_dpp v241, v252, v113 quad_perm:[1,1,1,1] row_mask:0xf bank_mask:0xf// 0000000279C8: 0BE2E2FA FF0055FC
	v_mul_f32_dpp v242, v252, v114 quad_perm:[2,2,2,2] row_mask:0xf bank_mask:0xf// 0000000279D0: 0BE4E4FA FF00AAFC
	v_mul_f32_dpp v243, v252, v115 quad_perm:[3,3,3,3] row_mask:0xf bank_mask:0xf// 0000000279D8: 0BE6E6FA FF00FFFC
	v_mul_f32_dpp v244, v253, v116 quad_perm:[0,0,0,0] row_mask:0xf bank_mask:0xf// 0000000279E0: 0BE8E8FA FF0000FD
	v_mul_f32_dpp v245, v253, v117 quad_perm:[1,1,1,1] row_mask:0xf bank_mask:0xf// 0000000279E8: 0BEAEAFA FF0055FD
	v_mul_f32_dpp v246, v253, v118 quad_perm:[2,2,2,2] row_mask:0xf bank_mask:0xf// 0000000279F0: 0BECECFA FF00AAFD
	v_mul_f32_dpp v247, v253, v119 quad_perm:[3,3,3,3] row_mask:0xf bank_mask:0xf// 0000000279F8: 0BEEEEFA FF00FFFD
	v_mul_f32_dpp v248, v254, v120 quad_perm:[0,0,0,0] row_mask:0xf bank_mask:0xf// 000000027A00: 0BF0F0FA FF0000FE
	v_mul_f32_dpp v249, v254, v121 quad_perm:[1,1,1,1] row_mask:0xf bank_mask:0xf// 000000027A08: 0BF2F2FA FF0055FE
	v_mul_f32_dpp v250, v254, v122 quad_perm:[2,2,2,2] row_mask:0xf bank_mask:0xf// 000000027A10: 0BF4F4FA FF00AAFE
	v_mul_f32_dpp v251, v254, v123 quad_perm:[3,3,3,3] row_mask:0xf bank_mask:0xf// 000000027A18: 0BF6F6FA FF00FFFE
	v_mul_f32_dpp v252, v255, v124 quad_perm:[0,0,0,0] row_mask:0xf bank_mask:0xf// 000000027A20: 0BF8F8FA FF0000FF
	v_mul_f32_dpp v253, v255, v125 quad_perm:[1,1,1,1] row_mask:0xf bank_mask:0xf// 000000027A28: 0BFAFAFA FF0055FF
	v_mul_f32_dpp v254, v255, v126 quad_perm:[2,2,2,2] row_mask:0xf bank_mask:0xf// 000000027A30: 0BFCFCFA FF00AAFF
	v_mul_f32_dpp v255, v255, v127 quad_perm:[3,3,3,3] row_mask:0xf bank_mask:0xf// 000000027A38: 0BFEFEFA FF00FFFF
	v_mov_b32_e32 v48, 0x358637bd                              // 000000027A40: 7E6002FF 358637BD
	v_max3_f32 v48, |v240|, |v241|, v48                        // 000000027A48: D1D30330 04C3E3F0
	v_max3_f32 v48, |v242|, |v243|, v48                        // 000000027A50: D1D30330 04C3E7F2
	v_max3_f32 v48, |v244|, |v245|, v48                        // 000000027A58: D1D30330 04C3EBF4
	v_max3_f32 v48, |v246|, |v247|, v48                        // 000000027A60: D1D30330 04C3EFF6
	v_max3_f32 v48, |v248|, |v249|, v48                        // 000000027A68: D1D30330 04C3F3F8
	v_max3_f32 v48, |v250|, |v251|, v48                        // 000000027A70: D1D30330 04C3F7FA
	v_max3_f32 v48, |v252|, |v253|, v48                        // 000000027A78: D1D30330 04C3FBFC
	v_max3_f32 v48, |v254|, |v255|, v48                        // 000000027A80: D1D30330 04C3FFFE
	ds_write_b32 v8, v48 offset:20992                          // 000000027A88: D81A5200 00003008
	v_sub_f32_e32 v49, v11, v15                                // 000000027A90: 04621F0B
	v_cndmask_b32_e64 v49, v49, 0, s[40:41]                    // 000000027A94: D1000031 00A10131
	v_mov_b32_e32 v11, v15                                     // 000000027A9C: 7E16030F
	v_mul_f32_e32 v49, s64, v49                                // 000000027AA0: 0A626240
	v_exp_f32_e32 v49, v49                                     // 000000027AA4: 7E624131
	s_waitcnt lgkmcnt(0)                                       // 000000027AA8: BF8CC07F
	s_barrier                                                  // 000000027AAC: BF8A0000
	ds_read_b32 v64, v7 offset:20992                           // 000000027AB0: D86C5200 40000007
	ds_read_b32 v65, v7 offset:21056                           // 000000027AB8: D86C5240 41000007
	ds_read_b32 v66, v7 offset:21120                           // 000000027AC0: D86C5280 42000007
	ds_read_b32 v67, v7 offset:21184                           // 000000027AC8: D86C52C0 43000007
	ds_read_b32 v68, v7 offset:21248                           // 000000027AD0: D86C5300 44000007
	ds_read_b32 v69, v7 offset:21312                           // 000000027AD8: D86C5340 45000007
	ds_read_b32 v70, v7 offset:21376                           // 000000027AE0: D86C5380 46000007
	ds_read_b32 v71, v7 offset:21440                           // 000000027AE8: D86C53C0 47000007
	ds_read_b32 v72, v7 offset:21504                           // 000000027AF0: D86C5400 48000007
	ds_read_b32 v73, v7 offset:21568                           // 000000027AF8: D86C5440 49000007
	ds_read_b32 v74, v7 offset:21632                           // 000000027B00: D86C5480 4A000007
	ds_read_b32 v75, v7 offset:21696                           // 000000027B08: D86C54C0 4B000007
	ds_read_b32 v76, v7 offset:21760                           // 000000027B10: D86C5500 4C000007
	ds_read_b32 v77, v7 offset:21824                           // 000000027B18: D86C5540 4D000007
	ds_read_b32 v78, v7 offset:21888                           // 000000027B20: D86C5580 4E000007
	ds_read_b32 v79, v7 offset:21952                           // 000000027B28: D86C55C0 4F000007
	v_mul_f32_e32 v38, v49, v38                                // 000000027B30: 0A4C4D31
	v_mov_b32_e32 v15, v112                                    // 000000027B34: 7E1E0370
	v_add_f32_e32 v15, v113, v15                               // 000000027B38: 021E1F71
	v_add_f32_e32 v15, v114, v15                               // 000000027B3C: 021E1F72
	v_add_f32_e32 v15, v115, v15                               // 000000027B40: 021E1F73
	v_add_f32_e32 v15, v116, v15                               // 000000027B44: 021E1F74
	v_add_f32_e32 v15, v117, v15                               // 000000027B48: 021E1F75
	v_add_f32_e32 v15, v118, v15                               // 000000027B4C: 021E1F76
	v_add_f32_e32 v15, v119, v15                               // 000000027B50: 021E1F77
	v_add_f32_e32 v15, v120, v15                               // 000000027B54: 021E1F78
	v_add_f32_e32 v15, v121, v15                               // 000000027B58: 021E1F79
	v_add_f32_e32 v15, v122, v15                               // 000000027B5C: 021E1F7A
	v_add_f32_e32 v15, v123, v15                               // 000000027B60: 021E1F7B
	v_add_f32_e32 v15, v124, v15                               // 000000027B64: 021E1F7C
	v_add_f32_e32 v15, v125, v15                               // 000000027B68: 021E1F7D
	v_add_f32_e32 v15, v126, v15                               // 000000027B6C: 021E1F7E
	v_add_f32_e32 v15, v127, v15                               // 000000027B70: 021E1F7F
	v_add_f32_e32 v38, v15, v38                                // 000000027B74: 024C4D0F
	s_waitcnt lgkmcnt(0)                                       // 000000027B78: BF8CC07F
	v_max3_f32 v48, |v64|, |v65|, v48                          // 000000027B7C: D1D30330 04C28340
	v_max3_f32 v48, |v66|, |v67|, v48                          // 000000027B84: D1D30330 04C28742
	v_max3_f32 v48, |v68|, |v69|, v48                          // 000000027B8C: D1D30330 04C28B44
	v_max3_f32 v48, |v70|, |v71|, v48                          // 000000027B94: D1D30330 04C28F46
	v_max3_f32 v48, |v72|, |v73|, v48                          // 000000027B9C: D1D30330 04C29348
	v_max3_f32 v48, |v74|, |v75|, v48                          // 000000027BA4: D1D30330 04C2974A
	v_max3_f32 v48, |v76|, |v77|, v48                          // 000000027BAC: D1D30330 04C29B4C
	v_max3_f32 v48, |v78|, |v79|, v48                          // 000000027BB4: D1D30330 04C29F4E
	s_nop 2                                                    // 000000027BBC: BF800002
	v_rcp_f32_e32 v48, v48                                     // 000000027BC0: 7E604530
	s_nop 1                                                    // 000000027BC4: BF800001
	v_mul_f32_e32 v48, 0x42fe0000, v48                         // 000000027BC8: 0A6060FF 42FE0000
	v_mul_f32_e32 v112, v48, v240                              // 000000027BD0: 0AE1E130
	v_mul_f32_e32 v113, v48, v241                              // 000000027BD4: 0AE3E330
	v_mul_f32_e32 v114, v48, v242                              // 000000027BD8: 0AE5E530
	v_mul_f32_e32 v115, v48, v243                              // 000000027BDC: 0AE7E730
	v_mul_f32_e32 v116, v48, v244                              // 000000027BE0: 0AE9E930
	v_mul_f32_e32 v117, v48, v245                              // 000000027BE4: 0AEBEB30
	v_mul_f32_e32 v118, v48, v246                              // 000000027BE8: 0AEDED30
	v_mul_f32_e32 v119, v48, v247                              // 000000027BEC: 0AEFEF30
	v_mul_f32_e32 v120, v48, v248                              // 000000027BF0: 0AF1F130
	v_mul_f32_e32 v121, v48, v249                              // 000000027BF4: 0AF3F330
	v_mul_f32_e32 v122, v48, v250                              // 000000027BF8: 0AF5F530
	v_mul_f32_e32 v123, v48, v251                              // 000000027BFC: 0AF7F730
	v_mul_f32_e32 v124, v48, v252                              // 000000027C00: 0AF9F930
	v_mul_f32_e32 v125, v48, v253                              // 000000027C04: 0AFBFB30
	v_mul_f32_e32 v126, v48, v254                              // 000000027C08: 0AFDFD30
	v_mul_f32_e32 v127, v48, v255                              // 000000027C0C: 0AFFFF30
	v_cvt_i32_f32_e32 v112, v112                               // 000000027C10: 7EE01170
	v_cvt_i32_f32_e32 v113, v113                               // 000000027C14: 7EE21171
	v_cvt_i32_f32_e32 v114, v114                               // 000000027C18: 7EE41172
	v_cvt_i32_f32_e32 v115, v115                               // 000000027C1C: 7EE61173
	v_cvt_i32_f32_e32 v116, v116                               // 000000027C20: 7EE81174
	v_cvt_i32_f32_e32 v117, v117                               // 000000027C24: 7EEA1175
	v_cvt_i32_f32_e32 v118, v118                               // 000000027C28: 7EEC1176
	v_cvt_i32_f32_e32 v119, v119                               // 000000027C2C: 7EEE1177
	v_cvt_i32_f32_e32 v120, v120                               // 000000027C30: 7EF01178
	v_cvt_i32_f32_e32 v121, v121                               // 000000027C34: 7EF21179
	v_cvt_i32_f32_e32 v122, v122                               // 000000027C38: 7EF4117A
	v_cvt_i32_f32_e32 v123, v123                               // 000000027C3C: 7EF6117B
	v_cvt_i32_f32_e32 v124, v124                               // 000000027C40: 7EF8117C
	v_cvt_i32_f32_e32 v125, v125                               // 000000027C44: 7EFA117D
	v_cvt_i32_f32_e32 v126, v126                               // 000000027C48: 7EFC117E
	v_cvt_i32_f32_e32 v127, v127                               // 000000027C4C: 7EFE117F
	v_perm_b32 v112, v113, v112, s53                           // 000000027C50: D1ED0070 00D6E171
	v_perm_b32 v112, v114, v112, s54                           // 000000027C58: D1ED0070 00DAE172
	v_perm_b32 v112, v115, v112, s55                           // 000000027C60: D1ED0070 00DEE173
	v_perm_b32 v113, v117, v116, s53                           // 000000027C68: D1ED0071 00D6E975
	v_perm_b32 v113, v118, v113, s54                           // 000000027C70: D1ED0071 00DAE376
	v_perm_b32 v113, v119, v113, s55                           // 000000027C78: D1ED0071 00DEE377
	v_perm_b32 v114, v121, v120, s53                           // 000000027C80: D1ED0072 00D6F179
	v_perm_b32 v114, v122, v114, s54                           // 000000027C88: D1ED0072 00DAE57A
	v_perm_b32 v114, v123, v114, s55                           // 000000027C90: D1ED0072 00DEE57B
	v_perm_b32 v115, v125, v124, s53                           // 000000027C98: D1ED0073 00D6F97D
	v_perm_b32 v115, v126, v115, s54                           // 000000027CA0: D1ED0073 00DAE77E
	v_perm_b32 v115, v127, v115, s55                           // 000000027CA8: D1ED0073 00DEE77F
	ds_write_b32 v10, v112 offset:25088                        // 000000027CB0: D81A6200 0000700A
	ds_write_b32 v10, v113 offset:26112                        // 000000027CB8: D81A6600 0000710A
	ds_write_b32 v10, v114 offset:27136                        // 000000027CC0: D81A6A00 0000720A
	ds_write_b32 v10, v115 offset:28160                        // 000000027CC8: D81A6E00 0000730A
	v_add_f32_e32 v208, v208, v176                             // 000000027CD0: 03A161D0
	v_add_f32_e32 v209, v209, v177                             // 000000027CD4: 03A363D1
	v_add_f32_e32 v210, v210, v178                             // 000000027CD8: 03A565D2
	v_add_f32_e32 v211, v211, v179                             // 000000027CDC: 03A767D3
	v_add_f32_e32 v212, v212, v180                             // 000000027CE0: 03A969D4
	v_add_f32_e32 v213, v213, v181                             // 000000027CE4: 03AB6BD5
	v_add_f32_e32 v214, v214, v182                             // 000000027CE8: 03AD6DD6
	v_add_f32_e32 v215, v215, v183                             // 000000027CEC: 03AF6FD7
	v_rcp_f32_e32 v44, v48                                     // 000000027CF0: 7E584530
	s_waitcnt lgkmcnt(0)                                       // 000000027CF4: BF8CC07F
	s_barrier                                                  // 000000027CF8: BF8A0000
	ds_read_b64 v[112:113], v9 offset:25088                    // 000000027CFC: D8EC6200 70000009
	ds_read_b64 v[114:115], v9 offset:25216                    // 000000027D04: D8EC6280 72000009
	ds_read_b64 v[116:117], v9 offset:26112                    // 000000027D0C: D8EC6600 74000009
	ds_read_b64 v[118:119], v9 offset:26240                    // 000000027D14: D8EC6680 76000009
	ds_read_b64 v[120:121], v9 offset:27136                    // 000000027D1C: D8EC6A00 78000009
	ds_read_b64 v[122:123], v9 offset:27264                    // 000000027D24: D8EC6A80 7A000009
	ds_read_b64 v[124:125], v9 offset:28160                    // 000000027D2C: D8EC6E00 7C000009
	ds_read_b64 v[126:127], v9 offset:28288                    // 000000027D34: D8EC6E80 7E000009
	v_mov_b32_dpp v64, v43 row_shr:4 row_mask:0xf bank_mask:0xf// 000000027D3C: 7E8002FA FF01142B
	v_mov_b32_dpp v65, v43 row_shl:4 row_mask:0xf bank_mask:0xf// 000000027D44: 7E8202FA FF01042B
	v_cndmask_b32_e64 v248, v43, v64, s[44:45]                 // 000000027D4C: D10000F8 00B2812B
	v_cndmask_b32_e64 v249, v65, v43, s[44:45]                 // 000000027D54: D10000F9 00B25741
	v_mov_b32_dpp v64, v248 row_shr:8 row_mask:0xf bank_mask:0xf// 000000027D5C: 7E8002FA FF0118F8
	v_mov_b32_dpp v65, v248 row_shl:8 row_mask:0xf bank_mask:0xf// 000000027D64: 7E8202FA FF0108F8
	v_mov_b32_dpp v66, v249 row_shr:8 row_mask:0xf bank_mask:0xf// 000000027D6C: 7E8402FA FF0118F9
	v_mov_b32_dpp v67, v249 row_shl:8 row_mask:0xf bank_mask:0xf// 000000027D74: 7E8602FA FF0108F9
	v_mov_b32_e32 v68, v248                                    // 000000027D7C: 7E8803F8
	v_mov_b32_e32 v69, v249                                    // 000000027D80: 7E8A03F9
	v_cndmask_b32_e64 v248, v68, v64, s[42:43]                 // 000000027D84: D10000F8 00AA8144
	v_cndmask_b32_e64 v250, v68, v65, s[78:79]                 // 000000027D8C: D10000FA 013A8344
	v_cndmask_b32_e64 v249, v69, v66, s[42:43]                 // 000000027D94: D10000F9 00AA8545
	v_cndmask_b32_e64 v251, v69, v67, s[78:79]                 // 000000027D9C: D10000FB 013A8745
	v_mov_b32_dpp v64, v58 row_shr:4 row_mask:0xf bank_mask:0xf// 000000027DA4: 7E8002FA FF01143A
	v_mov_b32_dpp v65, v58 row_shl:4 row_mask:0xf bank_mask:0xf// 000000027DAC: 7E8202FA FF01043A
	v_cndmask_b32_e64 v252, v58, v64, s[44:45]                 // 000000027DB4: D10000FC 00B2813A
	v_cndmask_b32_e64 v253, v65, v58, s[44:45]                 // 000000027DBC: D10000FD 00B27541
	v_mov_b32_dpp v64, v252 row_shr:8 row_mask:0xf bank_mask:0xf// 000000027DC4: 7E8002FA FF0118FC
	v_mov_b32_dpp v65, v252 row_shl:8 row_mask:0xf bank_mask:0xf// 000000027DCC: 7E8202FA FF0108FC
	v_mov_b32_dpp v66, v253 row_shr:8 row_mask:0xf bank_mask:0xf// 000000027DD4: 7E8402FA FF0118FD
	v_mov_b32_dpp v67, v253 row_shl:8 row_mask:0xf bank_mask:0xf// 000000027DDC: 7E8602FA FF0108FD
	v_mov_b32_e32 v68, v252                                    // 000000027DE4: 7E8803FC
	v_mov_b32_e32 v69, v253                                    // 000000027DE8: 7E8A03FD
	v_cndmask_b32_e64 v252, v68, v64, s[42:43]                 // 000000027DEC: D10000FC 00AA8144
	v_cndmask_b32_e64 v254, v68, v65, s[78:79]                 // 000000027DF4: D10000FE 013A8344
	v_cndmask_b32_e64 v253, v69, v66, s[42:43]                 // 000000027DFC: D10000FD 00AA8545
	v_cndmask_b32_e64 v255, v69, v67, s[78:79]                 // 000000027E04: D10000FF 013A8745
	v_cvt_f32_i32_e32 v128, v128                               // 000000027E0C: 7F000B80
	v_cvt_f32_i32_e32 v129, v129                               // 000000027E10: 7F020B81
	v_cvt_f32_i32_e32 v130, v130                               // 000000027E14: 7F040B82
	v_cvt_f32_i32_e32 v131, v131                               // 000000027E18: 7F060B83
	v_cvt_f32_i32_e32 v132, v132                               // 000000027E1C: 7F080B84
	v_cvt_f32_i32_e32 v133, v133                               // 000000027E20: 7F0A0B85
	v_cvt_f32_i32_e32 v134, v134                               // 000000027E24: 7F0C0B86
	v_cvt_f32_i32_e32 v135, v135                               // 000000027E28: 7F0E0B87
	v_cvt_f32_i32_e32 v136, v136                               // 000000027E2C: 7F100B88
	v_cvt_f32_i32_e32 v137, v137                               // 000000027E30: 7F120B89
	v_cvt_f32_i32_e32 v138, v138                               // 000000027E34: 7F140B8A
	v_cvt_f32_i32_e32 v139, v139                               // 000000027E38: 7F160B8B
	v_cvt_f32_i32_e32 v140, v140                               // 000000027E3C: 7F180B8C
	v_cvt_f32_i32_e32 v141, v141                               // 000000027E40: 7F1A0B8D
	v_cvt_f32_i32_e32 v142, v142                               // 000000027E44: 7F1C0B8E
	v_cvt_f32_i32_e32 v143, v143                               // 000000027E48: 7F1E0B8F
	v_mul_f32_e32 v128, v19, v128                              // 000000027E4C: 0B010113
	v_mul_f32_e32 v129, v19, v129                              // 000000027E50: 0B030313
	v_mul_f32_e32 v130, v19, v130                              // 000000027E54: 0B050513
	v_mul_f32_e32 v131, v19, v131                              // 000000027E58: 0B070713
	v_mul_f32_e32 v132, v19, v132                              // 000000027E5C: 0B090913
	v_mul_f32_e32 v133, v19, v133                              // 000000027E60: 0B0B0B13
	v_mul_f32_e32 v134, v19, v134                              // 000000027E64: 0B0D0D13
	v_mul_f32_e32 v135, v19, v135                              // 000000027E68: 0B0F0F13
	v_mul_f32_e32 v136, v19, v136                              // 000000027E6C: 0B111113
	v_mul_f32_e32 v137, v19, v137                              // 000000027E70: 0B131313
	v_mul_f32_e32 v138, v19, v138                              // 000000027E74: 0B151513
	v_mul_f32_e32 v139, v19, v139                              // 000000027E78: 0B171713
	v_mul_f32_e32 v140, v19, v140                              // 000000027E7C: 0B191913
	v_mul_f32_e32 v141, v19, v141                              // 000000027E80: 0B1B1B13
	v_mul_f32_e32 v142, v19, v142                              // 000000027E84: 0B1D1D13
	v_mul_f32_e32 v143, v19, v143                              // 000000027E88: 0B1F1F13
	v_mul_f32_dpp v128, v248, v128 quad_perm:[0,0,0,0] row_mask:0xf bank_mask:0xf// 000000027E8C: 0B0100FA FF0000F8
	v_mul_f32_dpp v129, v248, v129 quad_perm:[1,1,1,1] row_mask:0xf bank_mask:0xf// 000000027E94: 0B0302FA FF0055F8
	v_mul_f32_dpp v130, v248, v130 quad_perm:[2,2,2,2] row_mask:0xf bank_mask:0xf// 000000027E9C: 0B0504FA FF00AAF8
	v_mul_f32_dpp v131, v248, v131 quad_perm:[3,3,3,3] row_mask:0xf bank_mask:0xf// 000000027EA4: 0B0706FA FF00FFF8
	v_mul_f32_dpp v132, v249, v132 quad_perm:[0,0,0,0] row_mask:0xf bank_mask:0xf// 000000027EAC: 0B0908FA FF0000F9
	v_mul_f32_dpp v133, v249, v133 quad_perm:[1,1,1,1] row_mask:0xf bank_mask:0xf// 000000027EB4: 0B0B0AFA FF0055F9
	v_mul_f32_dpp v134, v249, v134 quad_perm:[2,2,2,2] row_mask:0xf bank_mask:0xf// 000000027EBC: 0B0D0CFA FF00AAF9
	v_mul_f32_dpp v135, v249, v135 quad_perm:[3,3,3,3] row_mask:0xf bank_mask:0xf// 000000027EC4: 0B0F0EFA FF00FFF9
	v_mul_f32_dpp v136, v250, v136 quad_perm:[0,0,0,0] row_mask:0xf bank_mask:0xf// 000000027ECC: 0B1110FA FF0000FA
	v_mul_f32_dpp v137, v250, v137 quad_perm:[1,1,1,1] row_mask:0xf bank_mask:0xf// 000000027ED4: 0B1312FA FF0055FA
	v_mul_f32_dpp v138, v250, v138 quad_perm:[2,2,2,2] row_mask:0xf bank_mask:0xf// 000000027EDC: 0B1514FA FF00AAFA
	v_mul_f32_dpp v139, v250, v139 quad_perm:[3,3,3,3] row_mask:0xf bank_mask:0xf// 000000027EE4: 0B1716FA FF00FFFA
	v_mul_f32_dpp v140, v251, v140 quad_perm:[0,0,0,0] row_mask:0xf bank_mask:0xf// 000000027EEC: 0B1918FA FF0000FB
	v_mul_f32_dpp v141, v251, v141 quad_perm:[1,1,1,1] row_mask:0xf bank_mask:0xf// 000000027EF4: 0B1B1AFA FF0055FB
	v_mul_f32_dpp v142, v251, v142 quad_perm:[2,2,2,2] row_mask:0xf bank_mask:0xf// 000000027EFC: 0B1D1CFA FF00AAFB
	v_mul_f32_dpp v143, v251, v143 quad_perm:[3,3,3,3] row_mask:0xf bank_mask:0xf// 000000027F04: 0B1F1EFA FF00FFFB
	s_and_b32 s60, s72, 0xff                                   // 000000027F0C: 863CFF48 000000FF
	v_mov_b32_e32 v65, s60                                     // 000000027F14: 7E82023C
	v_lshrrev_b32_e32 v240, 4, v0                              // 000000027F18: 21E00084
	v_mul_i32_i24_e32 v240, 4, v240                            // 000000027F1C: 0DE1E084
	s_mul_i32 s60, s7, 16                                      // 000000027F20: 923C9007
	v_add_u32_e32 v240, s60, v240                              // 000000027F24: 69E1E03C
	v_add_u32_e32 v241, 1, v240                                // 000000027F28: 69E3E081
	v_add_u32_e32 v242, 2, v240                                // 000000027F2C: 69E5E082
	v_add_u32_e32 v243, 3, v240                                // 000000027F30: 69E7E083
	v_mov_b32_e32 v64, 0xff800000                              // 000000027F34: 7E8002FF FF800000
	v_cmp_lt_u32_e64 s[40:41], v240, v65                       // 000000027F3C: D0C90028 000283F0
	v_add_u32_e32 v240, 64, v240                               // 000000027F44: 69E1E0C0
	s_nop 0                                                    // 000000027F48: BF800000
	v_cndmask_b32_e64 v128, v64, v128, s[40:41]                // 000000027F4C: D1000080 00A30140
	v_cmp_lt_u32_e64 s[40:41], v241, v65                       // 000000027F54: D0C90028 000283F1
	v_add_u32_e32 v241, 64, v241                               // 000000027F5C: 69E3E2C0
	s_nop 0                                                    // 000000027F60: BF800000
	v_cndmask_b32_e64 v129, v64, v129, s[40:41]                // 000000027F64: D1000081 00A30340
	v_cmp_lt_u32_e64 s[40:41], v242, v65                       // 000000027F6C: D0C90028 000283F2
	v_add_u32_e32 v242, 64, v242                               // 000000027F74: 69E5E4C0
	s_nop 0                                                    // 000000027F78: BF800000
	v_cndmask_b32_e64 v130, v64, v130, s[40:41]                // 000000027F7C: D1000082 00A30540
	v_cmp_lt_u32_e64 s[40:41], v243, v65                       // 000000027F84: D0C90028 000283F3
	v_add_u32_e32 v243, 64, v243                               // 000000027F8C: 69E7E6C0
	s_nop 0                                                    // 000000027F90: BF800000
	v_cndmask_b32_e64 v131, v64, v131, s[40:41]                // 000000027F94: D1000083 00A30740
	v_cmp_lt_u32_e64 s[40:41], v240, v65                       // 000000027F9C: D0C90028 000283F0
	v_add_u32_e32 v240, 64, v240                               // 000000027FA4: 69E1E0C0
	s_nop 0                                                    // 000000027FA8: BF800000
	v_cndmask_b32_e64 v132, v64, v132, s[40:41]                // 000000027FAC: D1000084 00A30940
	v_cmp_lt_u32_e64 s[40:41], v241, v65                       // 000000027FB4: D0C90028 000283F1
	v_add_u32_e32 v241, 64, v241                               // 000000027FBC: 69E3E2C0
	s_nop 0                                                    // 000000027FC0: BF800000
	v_cndmask_b32_e64 v133, v64, v133, s[40:41]                // 000000027FC4: D1000085 00A30B40
	v_cmp_lt_u32_e64 s[40:41], v242, v65                       // 000000027FCC: D0C90028 000283F2
	v_add_u32_e32 v242, 64, v242                               // 000000027FD4: 69E5E4C0
	s_nop 0                                                    // 000000027FD8: BF800000
	v_cndmask_b32_e64 v134, v64, v134, s[40:41]                // 000000027FDC: D1000086 00A30D40
	v_cmp_lt_u32_e64 s[40:41], v243, v65                       // 000000027FE4: D0C90028 000283F3
	v_add_u32_e32 v243, 64, v243                               // 000000027FEC: 69E7E6C0
	s_nop 0                                                    // 000000027FF0: BF800000
	v_cndmask_b32_e64 v135, v64, v135, s[40:41]                // 000000027FF4: D1000087 00A30F40
	v_cmp_lt_u32_e64 s[40:41], v240, v65                       // 000000027FFC: D0C90028 000283F0
	v_add_u32_e32 v240, 64, v240                               // 000000028004: 69E1E0C0
	s_nop 0                                                    // 000000028008: BF800000
	v_cndmask_b32_e64 v136, v64, v136, s[40:41]                // 00000002800C: D1000088 00A31140
	v_cmp_lt_u32_e64 s[40:41], v241, v65                       // 000000028014: D0C90028 000283F1
	v_add_u32_e32 v241, 64, v241                               // 00000002801C: 69E3E2C0
	s_nop 0                                                    // 000000028020: BF800000
	v_cndmask_b32_e64 v137, v64, v137, s[40:41]                // 000000028024: D1000089 00A31340
	v_cmp_lt_u32_e64 s[40:41], v242, v65                       // 00000002802C: D0C90028 000283F2
	v_add_u32_e32 v242, 64, v242                               // 000000028034: 69E5E4C0
	s_nop 0                                                    // 000000028038: BF800000
	v_cndmask_b32_e64 v138, v64, v138, s[40:41]                // 00000002803C: D100008A 00A31540
	v_cmp_lt_u32_e64 s[40:41], v243, v65                       // 000000028044: D0C90028 000283F3
	v_add_u32_e32 v243, 64, v243                               // 00000002804C: 69E7E6C0
	s_nop 0                                                    // 000000028050: BF800000
	v_cndmask_b32_e64 v139, v64, v139, s[40:41]                // 000000028054: D100008B 00A31740
	v_cmp_lt_u32_e64 s[40:41], v240, v65                       // 00000002805C: D0C90028 000283F0
	v_add_u32_e32 v240, 64, v240                               // 000000028064: 69E1E0C0
	s_nop 0                                                    // 000000028068: BF800000
	v_cndmask_b32_e64 v140, v64, v140, s[40:41]                // 00000002806C: D100008C 00A31940
	v_cmp_lt_u32_e64 s[40:41], v241, v65                       // 000000028074: D0C90028 000283F1
	v_add_u32_e32 v241, 64, v241                               // 00000002807C: 69E3E2C0
	s_nop 0                                                    // 000000028080: BF800000
	v_cndmask_b32_e64 v141, v64, v141, s[40:41]                // 000000028084: D100008D 00A31B40
	v_cmp_lt_u32_e64 s[40:41], v242, v65                       // 00000002808C: D0C90028 000283F2
	v_add_u32_e32 v242, 64, v242                               // 000000028094: 69E5E4C0
	s_nop 0                                                    // 000000028098: BF800000
	v_cndmask_b32_e64 v142, v64, v142, s[40:41]                // 00000002809C: D100008E 00A31D40
	v_cmp_lt_u32_e64 s[40:41], v243, v65                       // 0000000280A4: D0C90028 000283F3
	v_add_u32_e32 v243, 64, v243                               // 0000000280AC: 69E7E6C0
	s_nop 0                                                    // 0000000280B0: BF800000
	v_cndmask_b32_e64 v143, v64, v143, s[40:41]                // 0000000280B4: D100008F 00A31F40
	v_mov_b32_e32 v48, v128                                    // 0000000280BC: 7E600380
	v_max3_f32 v48, v128, v129, v48                            // 0000000280C0: D1D30030 04C30380
	v_max3_f32 v48, v130, v131, v48                            // 0000000280C8: D1D30030 04C30782
	v_max3_f32 v48, v132, v133, v48                            // 0000000280D0: D1D30030 04C30B84
	v_max3_f32 v48, v134, v135, v48                            // 0000000280D8: D1D30030 04C30F86
	v_max3_f32 v48, v136, v137, v48                            // 0000000280E0: D1D30030 04C31388
	v_max3_f32 v48, v138, v139, v48                            // 0000000280E8: D1D30030 04C3178A
	v_max3_f32 v48, v140, v141, v48                            // 0000000280F0: D1D30030 04C31B8C
	v_max3_f32 v48, v142, v143, v48                            // 0000000280F8: D1D30030 04C31F8E
	ds_write_b32 v8, v48 offset:16896                          // 000000028100: D81A4200 00003008
	v_mul_f32_e32 v216, v50, v216                              // 000000028108: 0BB1B132
	v_mul_f32_e32 v217, v50, v217                              // 00000002810C: 0BB3B332
	v_mul_f32_e32 v218, v50, v218                              // 000000028110: 0BB5B532
	v_mul_f32_e32 v219, v50, v219                              // 000000028114: 0BB7B732
	v_mul_f32_e32 v220, v50, v220                              // 000000028118: 0BB9B932
	v_mul_f32_e32 v221, v50, v221                              // 00000002811C: 0BBBBB32
	v_mul_f32_e32 v222, v50, v222                              // 000000028120: 0BBDBD32
	v_mul_f32_e32 v223, v50, v223                              // 000000028124: 0BBFBF32
	s_waitcnt lgkmcnt(0)                                       // 000000028128: BF8CC07F
	s_barrier                                                  // 00000002812C: BF8A0000
	ds_read_b32 v64, v7 offset:16896                           // 000000028130: D86C4200 40000007
	ds_read_b32 v65, v7 offset:16960                           // 000000028138: D86C4240 41000007
	ds_read_b32 v66, v7 offset:17024                           // 000000028140: D86C4280 42000007
	ds_read_b32 v67, v7 offset:17088                           // 000000028148: D86C42C0 43000007
	ds_read_b32 v68, v7 offset:17152                           // 000000028150: D86C4300 44000007
	ds_read_b32 v69, v7 offset:17216                           // 000000028158: D86C4340 45000007
	ds_read_b32 v70, v7 offset:17280                           // 000000028160: D86C4380 46000007
	ds_read_b32 v71, v7 offset:17344                           // 000000028168: D86C43C0 47000007
	ds_read_b32 v72, v7 offset:17408                           // 000000028170: D86C4400 48000007
	ds_read_b32 v73, v7 offset:17472                           // 000000028178: D86C4440 49000007
	ds_read_b32 v74, v7 offset:17536                           // 000000028180: D86C4480 4A000007
	ds_read_b32 v75, v7 offset:17600                           // 000000028188: D86C44C0 4B000007
	ds_read_b32 v76, v7 offset:17664                           // 000000028190: D86C4500 4C000007
	ds_read_b32 v77, v7 offset:17728                           // 000000028198: D86C4540 4D000007
	ds_read_b32 v78, v7 offset:17792                           // 0000000281A0: D86C4580 4E000007
	ds_read_b32 v79, v7 offset:17856                           // 0000000281A8: D86C45C0 4F000007
	v_cvt_f32_i32_e32 v184, v184                               // 0000000281B0: 7F700BB8
	v_cvt_f32_i32_e32 v185, v185                               // 0000000281B4: 7F720BB9
	v_cvt_f32_i32_e32 v186, v186                               // 0000000281B8: 7F740BBA
	v_cvt_f32_i32_e32 v187, v187                               // 0000000281BC: 7F760BBB
	v_cvt_f32_i32_e32 v188, v188                               // 0000000281C0: 7F780BBC
	v_cvt_f32_i32_e32 v189, v189                               // 0000000281C4: 7F7A0BBD
	v_cvt_f32_i32_e32 v190, v190                               // 0000000281C8: 7F7C0BBE
	v_cvt_f32_i32_e32 v191, v191                               // 0000000281CC: 7F7E0BBF
	v_mul_f32_e32 v184, v45, v184                              // 0000000281D0: 0B71712D
	v_mul_f32_e32 v185, v45, v185                              // 0000000281D4: 0B73732D
	v_mul_f32_e32 v186, v45, v186                              // 0000000281D8: 0B75752D
	v_mul_f32_e32 v187, v45, v187                              // 0000000281DC: 0B77772D
	v_mul_f32_e32 v188, v45, v188                              // 0000000281E0: 0B79792D
	v_mul_f32_e32 v189, v45, v189                              // 0000000281E4: 0B7B7B2D
	v_mul_f32_e32 v190, v45, v190                              // 0000000281E8: 0B7D7D2D
	v_mul_f32_e32 v191, v45, v191                              // 0000000281EC: 0B7F7F2D
	s_waitcnt lgkmcnt(0)                                       // 0000000281F0: BF8CC07F
	v_max3_f32 v48, v64, v65, v48                              // 0000000281F4: D1D30030 04C28340
	v_max3_f32 v48, v66, v67, v48                              // 0000000281FC: D1D30030 04C28742
	v_max3_f32 v48, v68, v69, v48                              // 000000028204: D1D30030 04C28B44
	v_max3_f32 v48, v70, v71, v48                              // 00000002820C: D1D30030 04C28F46
	v_max3_f32 v48, v72, v73, v48                              // 000000028214: D1D30030 04C29348
	v_max3_f32 v48, v74, v75, v48                              // 00000002821C: D1D30030 04C2974A
	v_max3_f32 v48, v76, v77, v48                              // 000000028224: D1D30030 04C29B4C
	v_max3_f32 v48, v78, v79, v48                              // 00000002822C: D1D30030 04C29F4E
	v_mov_b32_e32 v64, 0xff800000                              // 000000028234: 7E8002FF FF800000
	v_cmp_eq_u32_e64 s[40:41], v64, v12                        // 00000002823C: D0CA0028 00021940
	s_nop 1                                                    // 000000028244: BF800001
	v_max_f32_e32 v15, v48, v12                                // 000000028248: 161E1930
	v_mul_f32_e32 v53, s64, v15                                // 00000002824C: 0A6A1E40
	v_fma_f32 v128, v128, s64, -v53                            // 000000028250: D1CB0080 84D48180
	v_fma_f32 v129, v129, s64, -v53                            // 000000028258: D1CB0081 84D48181
	v_fma_f32 v130, v130, s64, -v53                            // 000000028260: D1CB0082 84D48182
	v_fma_f32 v131, v131, s64, -v53                            // 000000028268: D1CB0083 84D48183
	v_fma_f32 v132, v132, s64, -v53                            // 000000028270: D1CB0084 84D48184
	v_fma_f32 v133, v133, s64, -v53                            // 000000028278: D1CB0085 84D48185
	v_fma_f32 v134, v134, s64, -v53                            // 000000028280: D1CB0086 84D48186
	v_fma_f32 v135, v135, s64, -v53                            // 000000028288: D1CB0087 84D48187
	v_fma_f32 v136, v136, s64, -v53                            // 000000028290: D1CB0088 84D48188
	v_fma_f32 v137, v137, s64, -v53                            // 000000028298: D1CB0089 84D48189
	v_fma_f32 v138, v138, s64, -v53                            // 0000000282A0: D1CB008A 84D4818A
	v_fma_f32 v139, v139, s64, -v53                            // 0000000282A8: D1CB008B 84D4818B
	v_fma_f32 v140, v140, s64, -v53                            // 0000000282B0: D1CB008C 84D4818C
	v_fma_f32 v141, v141, s64, -v53                            // 0000000282B8: D1CB008D 84D4818D
	v_fma_f32 v142, v142, s64, -v53                            // 0000000282C0: D1CB008E 84D4818E
	v_fma_f32 v143, v143, s64, -v53                            // 0000000282C8: D1CB008F 84D4818F
	v_exp_f32_e32 v128, v128                                   // 0000000282D0: 7F004180
	v_exp_f32_e32 v129, v129                                   // 0000000282D4: 7F024181
	v_exp_f32_e32 v130, v130                                   // 0000000282D8: 7F044182
	v_exp_f32_e32 v131, v131                                   // 0000000282DC: 7F064183
	v_exp_f32_e32 v132, v132                                   // 0000000282E0: 7F084184
	v_exp_f32_e32 v133, v133                                   // 0000000282E4: 7F0A4185
	v_exp_f32_e32 v134, v134                                   // 0000000282E8: 7F0C4186
	v_exp_f32_e32 v135, v135                                   // 0000000282EC: 7F0E4187
	v_exp_f32_e32 v136, v136                                   // 0000000282F0: 7F104188
	v_exp_f32_e32 v137, v137                                   // 0000000282F4: 7F124189
	v_exp_f32_e32 v138, v138                                   // 0000000282F8: 7F14418A
	v_exp_f32_e32 v139, v139                                   // 0000000282FC: 7F16418B
	v_exp_f32_e32 v140, v140                                   // 000000028300: 7F18418C
	v_exp_f32_e32 v141, v141                                   // 000000028304: 7F1A418D
	v_exp_f32_e32 v142, v142                                   // 000000028308: 7F1C418E
	v_exp_f32_e32 v143, v143                                   // 00000002830C: 7F1E418F
	v_mul_f32_dpp v240, v252, v128 quad_perm:[0,0,0,0] row_mask:0xf bank_mask:0xf// 000000028310: 0BE100FA FF0000FC
	v_mul_f32_dpp v241, v252, v129 quad_perm:[1,1,1,1] row_mask:0xf bank_mask:0xf// 000000028318: 0BE302FA FF0055FC
	v_mul_f32_dpp v242, v252, v130 quad_perm:[2,2,2,2] row_mask:0xf bank_mask:0xf// 000000028320: 0BE504FA FF00AAFC
	v_mul_f32_dpp v243, v252, v131 quad_perm:[3,3,3,3] row_mask:0xf bank_mask:0xf// 000000028328: 0BE706FA FF00FFFC
	v_mul_f32_dpp v244, v253, v132 quad_perm:[0,0,0,0] row_mask:0xf bank_mask:0xf// 000000028330: 0BE908FA FF0000FD
	v_mul_f32_dpp v245, v253, v133 quad_perm:[1,1,1,1] row_mask:0xf bank_mask:0xf// 000000028338: 0BEB0AFA FF0055FD
	v_mul_f32_dpp v246, v253, v134 quad_perm:[2,2,2,2] row_mask:0xf bank_mask:0xf// 000000028340: 0BED0CFA FF00AAFD
	v_mul_f32_dpp v247, v253, v135 quad_perm:[3,3,3,3] row_mask:0xf bank_mask:0xf// 000000028348: 0BEF0EFA FF00FFFD
	v_mul_f32_dpp v248, v254, v136 quad_perm:[0,0,0,0] row_mask:0xf bank_mask:0xf// 000000028350: 0BF110FA FF0000FE
	v_mul_f32_dpp v249, v254, v137 quad_perm:[1,1,1,1] row_mask:0xf bank_mask:0xf// 000000028358: 0BF312FA FF0055FE
	v_mul_f32_dpp v250, v254, v138 quad_perm:[2,2,2,2] row_mask:0xf bank_mask:0xf// 000000028360: 0BF514FA FF00AAFE
	v_mul_f32_dpp v251, v254, v139 quad_perm:[3,3,3,3] row_mask:0xf bank_mask:0xf// 000000028368: 0BF716FA FF00FFFE
	v_mul_f32_dpp v252, v255, v140 quad_perm:[0,0,0,0] row_mask:0xf bank_mask:0xf// 000000028370: 0BF918FA FF0000FF
	v_mul_f32_dpp v253, v255, v141 quad_perm:[1,1,1,1] row_mask:0xf bank_mask:0xf// 000000028378: 0BFB1AFA FF0055FF
	v_mul_f32_dpp v254, v255, v142 quad_perm:[2,2,2,2] row_mask:0xf bank_mask:0xf// 000000028380: 0BFD1CFA FF00AAFF
	v_mul_f32_dpp v255, v255, v143 quad_perm:[3,3,3,3] row_mask:0xf bank_mask:0xf// 000000028388: 0BFF1EFA FF00FFFF
	v_mov_b32_e32 v48, 0x358637bd                              // 000000028390: 7E6002FF 358637BD
	v_max3_f32 v48, |v240|, |v241|, v48                        // 000000028398: D1D30330 04C3E3F0
	v_max3_f32 v48, |v242|, |v243|, v48                        // 0000000283A0: D1D30330 04C3E7F2
	v_max3_f32 v48, |v244|, |v245|, v48                        // 0000000283A8: D1D30330 04C3EBF4
	v_max3_f32 v48, |v246|, |v247|, v48                        // 0000000283B0: D1D30330 04C3EFF6
	v_max3_f32 v48, |v248|, |v249|, v48                        // 0000000283B8: D1D30330 04C3F3F8
	v_max3_f32 v48, |v250|, |v251|, v48                        // 0000000283C0: D1D30330 04C3F7FA
	v_max3_f32 v48, |v252|, |v253|, v48                        // 0000000283C8: D1D30330 04C3FBFC
	v_max3_f32 v48, |v254|, |v255|, v48                        // 0000000283D0: D1D30330 04C3FFFE
	ds_write_b32 v8, v48 offset:20992                          // 0000000283D8: D81A5200 00003008
	v_sub_f32_e32 v50, v12, v15                                // 0000000283E0: 04641F0C
	v_cndmask_b32_e64 v50, v50, 0, s[40:41]                    // 0000000283E4: D1000032 00A10132
	v_mov_b32_e32 v12, v15                                     // 0000000283EC: 7E18030F
	v_mul_f32_e32 v50, s64, v50                                // 0000000283F0: 0A646440
	v_exp_f32_e32 v50, v50                                     // 0000000283F4: 7E644132
	s_waitcnt lgkmcnt(0)                                       // 0000000283F8: BF8CC07F
	s_barrier                                                  // 0000000283FC: BF8A0000
	ds_read_b32 v64, v7 offset:20992                           // 000000028400: D86C5200 40000007
	ds_read_b32 v65, v7 offset:21056                           // 000000028408: D86C5240 41000007
	ds_read_b32 v66, v7 offset:21120                           // 000000028410: D86C5280 42000007
	ds_read_b32 v67, v7 offset:21184                           // 000000028418: D86C52C0 43000007
	ds_read_b32 v68, v7 offset:21248                           // 000000028420: D86C5300 44000007
	ds_read_b32 v69, v7 offset:21312                           // 000000028428: D86C5340 45000007
	ds_read_b32 v70, v7 offset:21376                           // 000000028430: D86C5380 46000007
	ds_read_b32 v71, v7 offset:21440                           // 000000028438: D86C53C0 47000007
	ds_read_b32 v72, v7 offset:21504                           // 000000028440: D86C5400 48000007
	ds_read_b32 v73, v7 offset:21568                           // 000000028448: D86C5440 49000007
	ds_read_b32 v74, v7 offset:21632                           // 000000028450: D86C5480 4A000007
	ds_read_b32 v75, v7 offset:21696                           // 000000028458: D86C54C0 4B000007
	ds_read_b32 v76, v7 offset:21760                           // 000000028460: D86C5500 4C000007
	ds_read_b32 v77, v7 offset:21824                           // 000000028468: D86C5540 4D000007
	ds_read_b32 v78, v7 offset:21888                           // 000000028470: D86C5580 4E000007
	ds_read_b32 v79, v7 offset:21952                           // 000000028478: D86C55C0 4F000007
	v_mul_f32_e32 v39, v50, v39                                // 000000028480: 0A4E4F32
	v_mov_b32_e32 v15, v128                                    // 000000028484: 7E1E0380
	v_add_f32_e32 v15, v129, v15                               // 000000028488: 021E1F81
	v_add_f32_e32 v15, v130, v15                               // 00000002848C: 021E1F82
	v_add_f32_e32 v15, v131, v15                               // 000000028490: 021E1F83
	v_add_f32_e32 v15, v132, v15                               // 000000028494: 021E1F84
	v_add_f32_e32 v15, v133, v15                               // 000000028498: 021E1F85
	v_add_f32_e32 v15, v134, v15                               // 00000002849C: 021E1F86
	v_add_f32_e32 v15, v135, v15                               // 0000000284A0: 021E1F87
	v_add_f32_e32 v15, v136, v15                               // 0000000284A4: 021E1F88
	v_add_f32_e32 v15, v137, v15                               // 0000000284A8: 021E1F89
	v_add_f32_e32 v15, v138, v15                               // 0000000284AC: 021E1F8A
	v_add_f32_e32 v15, v139, v15                               // 0000000284B0: 021E1F8B
	v_add_f32_e32 v15, v140, v15                               // 0000000284B4: 021E1F8C
	v_add_f32_e32 v15, v141, v15                               // 0000000284B8: 021E1F8D
	v_add_f32_e32 v15, v142, v15                               // 0000000284BC: 021E1F8E
	v_add_f32_e32 v15, v143, v15                               // 0000000284C0: 021E1F8F
	v_add_f32_e32 v39, v15, v39                                // 0000000284C4: 024E4F0F
	s_waitcnt lgkmcnt(0)                                       // 0000000284C8: BF8CC07F
	v_max3_f32 v48, |v64|, |v65|, v48                          // 0000000284CC: D1D30330 04C28340
	v_max3_f32 v48, |v66|, |v67|, v48                          // 0000000284D4: D1D30330 04C28742
	v_max3_f32 v48, |v68|, |v69|, v48                          // 0000000284DC: D1D30330 04C28B44
	v_max3_f32 v48, |v70|, |v71|, v48                          // 0000000284E4: D1D30330 04C28F46
	v_max3_f32 v48, |v72|, |v73|, v48                          // 0000000284EC: D1D30330 04C29348
	v_max3_f32 v48, |v74|, |v75|, v48                          // 0000000284F4: D1D30330 04C2974A
	v_max3_f32 v48, |v76|, |v77|, v48                          // 0000000284FC: D1D30330 04C29B4C
	v_max3_f32 v48, |v78|, |v79|, v48                          // 000000028504: D1D30330 04C29F4E
	s_nop 2                                                    // 00000002850C: BF800002
	v_rcp_f32_e32 v48, v48                                     // 000000028510: 7E604530
	s_nop 1                                                    // 000000028514: BF800001
	v_mul_f32_e32 v48, 0x42fe0000, v48                         // 000000028518: 0A6060FF 42FE0000
	v_mul_f32_e32 v128, v48, v240                              // 000000028520: 0B01E130
	v_mul_f32_e32 v129, v48, v241                              // 000000028524: 0B03E330
	v_mul_f32_e32 v130, v48, v242                              // 000000028528: 0B05E530
	v_mul_f32_e32 v131, v48, v243                              // 00000002852C: 0B07E730
	v_mul_f32_e32 v132, v48, v244                              // 000000028530: 0B09E930
	v_mul_f32_e32 v133, v48, v245                              // 000000028534: 0B0BEB30
	v_mul_f32_e32 v134, v48, v246                              // 000000028538: 0B0DED30
	v_mul_f32_e32 v135, v48, v247                              // 00000002853C: 0B0FEF30
	v_mul_f32_e32 v136, v48, v248                              // 000000028540: 0B11F130
	v_mul_f32_e32 v137, v48, v249                              // 000000028544: 0B13F330
	v_mul_f32_e32 v138, v48, v250                              // 000000028548: 0B15F530
	v_mul_f32_e32 v139, v48, v251                              // 00000002854C: 0B17F730
	v_mul_f32_e32 v140, v48, v252                              // 000000028550: 0B19F930
	v_mul_f32_e32 v141, v48, v253                              // 000000028554: 0B1BFB30
	v_mul_f32_e32 v142, v48, v254                              // 000000028558: 0B1DFD30
	v_mul_f32_e32 v143, v48, v255                              // 00000002855C: 0B1FFF30
	v_cvt_i32_f32_e32 v128, v128                               // 000000028560: 7F001180
	v_cvt_i32_f32_e32 v129, v129                               // 000000028564: 7F021181
	v_cvt_i32_f32_e32 v130, v130                               // 000000028568: 7F041182
	v_cvt_i32_f32_e32 v131, v131                               // 00000002856C: 7F061183
	v_cvt_i32_f32_e32 v132, v132                               // 000000028570: 7F081184
	v_cvt_i32_f32_e32 v133, v133                               // 000000028574: 7F0A1185
	v_cvt_i32_f32_e32 v134, v134                               // 000000028578: 7F0C1186
	v_cvt_i32_f32_e32 v135, v135                               // 00000002857C: 7F0E1187
	v_cvt_i32_f32_e32 v136, v136                               // 000000028580: 7F101188
	v_cvt_i32_f32_e32 v137, v137                               // 000000028584: 7F121189
	v_cvt_i32_f32_e32 v138, v138                               // 000000028588: 7F14118A
	v_cvt_i32_f32_e32 v139, v139                               // 00000002858C: 7F16118B
	v_cvt_i32_f32_e32 v140, v140                               // 000000028590: 7F18118C
	v_cvt_i32_f32_e32 v141, v141                               // 000000028594: 7F1A118D
	v_cvt_i32_f32_e32 v142, v142                               // 000000028598: 7F1C118E
	v_cvt_i32_f32_e32 v143, v143                               // 00000002859C: 7F1E118F
	v_perm_b32 v128, v129, v128, s53                           // 0000000285A0: D1ED0080 00D70181
	v_perm_b32 v128, v130, v128, s54                           // 0000000285A8: D1ED0080 00DB0182
	v_perm_b32 v128, v131, v128, s55                           // 0000000285B0: D1ED0080 00DF0183
	v_perm_b32 v129, v133, v132, s53                           // 0000000285B8: D1ED0081 00D70985
	v_perm_b32 v129, v134, v129, s54                           // 0000000285C0: D1ED0081 00DB0386
	v_perm_b32 v129, v135, v129, s55                           // 0000000285C8: D1ED0081 00DF0387
	v_perm_b32 v130, v137, v136, s53                           // 0000000285D0: D1ED0082 00D71189
	v_perm_b32 v130, v138, v130, s54                           // 0000000285D8: D1ED0082 00DB058A
	v_perm_b32 v130, v139, v130, s55                           // 0000000285E0: D1ED0082 00DF058B
	v_perm_b32 v131, v141, v140, s53                           // 0000000285E8: D1ED0083 00D7198D
	v_perm_b32 v131, v142, v131, s54                           // 0000000285F0: D1ED0083 00DB078E
	v_perm_b32 v131, v143, v131, s55                           // 0000000285F8: D1ED0083 00DF078F
	ds_write_b32 v10, v128 offset:29184                        // 000000028600: D81A7200 0000800A
	ds_write_b32 v10, v129 offset:30208                        // 000000028608: D81A7600 0000810A
	ds_write_b32 v10, v130 offset:31232                        // 000000028610: D81A7A00 0000820A
	ds_write_b32 v10, v131 offset:32256                        // 000000028618: D81A7E00 0000830A
	v_add_f32_e32 v216, v216, v184                             // 000000028620: 03B171D8
	v_add_f32_e32 v217, v217, v185                             // 000000028624: 03B373D9
	v_add_f32_e32 v218, v218, v186                             // 000000028628: 03B575DA
	v_add_f32_e32 v219, v219, v187                             // 00000002862C: 03B777DB
	v_add_f32_e32 v220, v220, v188                             // 000000028630: 03B979DC
	v_add_f32_e32 v221, v221, v189                             // 000000028634: 03BB7BDD
	v_add_f32_e32 v222, v222, v190                             // 000000028638: 03BD7DDE
	v_add_f32_e32 v223, v223, v191                             // 00000002863C: 03BF7FDF
	v_rcp_f32_e32 v45, v48                                     // 000000028640: 7E5A4530
	s_waitcnt lgkmcnt(0)                                       // 000000028644: BF8CC07F
	s_barrier                                                  // 000000028648: BF8A0000
	ds_read_b64 v[128:129], v9 offset:29184                    // 00000002864C: D8EC7200 80000009
	ds_read_b64 v[130:131], v9 offset:29312                    // 000000028654: D8EC7280 82000009
	ds_read_b64 v[132:133], v9 offset:30208                    // 00000002865C: D8EC7600 84000009
	ds_read_b64 v[134:135], v9 offset:30336                    // 000000028664: D8EC7680 86000009
	ds_read_b64 v[136:137], v9 offset:31232                    // 00000002866C: D8EC7A00 88000009
	ds_read_b64 v[138:139], v9 offset:31360                    // 000000028674: D8EC7A80 8A000009
	ds_read_b64 v[140:141], v9 offset:32256                    // 00000002867C: D8EC7E00 8C000009
	ds_read_b64 v[142:143], v9 offset:32384                    // 000000028684: D8EC7E80 8E000009
	v_mov_b32_dpp v64, v43 row_shr:4 row_mask:0xf bank_mask:0xf// 00000002868C: 7E8002FA FF01142B
	v_mov_b32_dpp v65, v43 row_shl:4 row_mask:0xf bank_mask:0xf// 000000028694: 7E8202FA FF01042B
	v_cndmask_b32_e64 v248, v43, v64, s[44:45]                 // 00000002869C: D10000F8 00B2812B
	v_cndmask_b32_e64 v249, v65, v43, s[44:45]                 // 0000000286A4: D10000F9 00B25741
	v_mov_b32_dpp v64, v248 row_shr:8 row_mask:0xf bank_mask:0xf// 0000000286AC: 7E8002FA FF0118F8
	v_mov_b32_dpp v65, v248 row_shl:8 row_mask:0xf bank_mask:0xf// 0000000286B4: 7E8202FA FF0108F8
	v_mov_b32_dpp v66, v249 row_shr:8 row_mask:0xf bank_mask:0xf// 0000000286BC: 7E8402FA FF0118F9
	v_mov_b32_dpp v67, v249 row_shl:8 row_mask:0xf bank_mask:0xf// 0000000286C4: 7E8602FA FF0108F9
	v_mov_b32_e32 v68, v248                                    // 0000000286CC: 7E8803F8
	v_mov_b32_e32 v69, v249                                    // 0000000286D0: 7E8A03F9
	v_cndmask_b32_e64 v248, v68, v64, s[42:43]                 // 0000000286D4: D10000F8 00AA8144
	v_cndmask_b32_e64 v250, v68, v65, s[78:79]                 // 0000000286DC: D10000FA 013A8344
	v_cndmask_b32_e64 v249, v69, v66, s[42:43]                 // 0000000286E4: D10000F9 00AA8545
	v_cndmask_b32_e64 v251, v69, v67, s[78:79]                 // 0000000286EC: D10000FB 013A8745
	v_mov_b32_dpp v64, v58 row_shr:4 row_mask:0xf bank_mask:0xf// 0000000286F4: 7E8002FA FF01143A
	v_mov_b32_dpp v65, v58 row_shl:4 row_mask:0xf bank_mask:0xf// 0000000286FC: 7E8202FA FF01043A
	v_cndmask_b32_e64 v252, v58, v64, s[44:45]                 // 000000028704: D10000FC 00B2813A
	v_cndmask_b32_e64 v253, v65, v58, s[44:45]                 // 00000002870C: D10000FD 00B27541
	v_mov_b32_dpp v64, v252 row_shr:8 row_mask:0xf bank_mask:0xf// 000000028714: 7E8002FA FF0118FC
	v_mov_b32_dpp v65, v252 row_shl:8 row_mask:0xf bank_mask:0xf// 00000002871C: 7E8202FA FF0108FC
	v_mov_b32_dpp v66, v253 row_shr:8 row_mask:0xf bank_mask:0xf// 000000028724: 7E8402FA FF0118FD
	v_mov_b32_dpp v67, v253 row_shl:8 row_mask:0xf bank_mask:0xf// 00000002872C: 7E8602FA FF0108FD
	v_mov_b32_e32 v68, v252                                    // 000000028734: 7E8803FC
	v_mov_b32_e32 v69, v253                                    // 000000028738: 7E8A03FD
	v_cndmask_b32_e64 v252, v68, v64, s[42:43]                 // 00000002873C: D10000FC 00AA8144
	v_cndmask_b32_e64 v254, v68, v65, s[78:79]                 // 000000028744: D10000FE 013A8344
	v_cndmask_b32_e64 v253, v69, v66, s[42:43]                 // 00000002874C: D10000FD 00AA8545
	v_cndmask_b32_e64 v255, v69, v67, s[78:79]                 // 000000028754: D10000FF 013A8745
	v_cvt_f32_i32_e32 v144, v144                               // 00000002875C: 7F200B90
	v_cvt_f32_i32_e32 v145, v145                               // 000000028760: 7F220B91
	v_cvt_f32_i32_e32 v146, v146                               // 000000028764: 7F240B92
	v_cvt_f32_i32_e32 v147, v147                               // 000000028768: 7F260B93
	v_cvt_f32_i32_e32 v148, v148                               // 00000002876C: 7F280B94
	v_cvt_f32_i32_e32 v149, v149                               // 000000028770: 7F2A0B95
	v_cvt_f32_i32_e32 v150, v150                               // 000000028774: 7F2C0B96
	v_cvt_f32_i32_e32 v151, v151                               // 000000028778: 7F2E0B97
	v_cvt_f32_i32_e32 v152, v152                               // 00000002877C: 7F300B98
	v_cvt_f32_i32_e32 v153, v153                               // 000000028780: 7F320B99
	v_cvt_f32_i32_e32 v154, v154                               // 000000028784: 7F340B9A
	v_cvt_f32_i32_e32 v155, v155                               // 000000028788: 7F360B9B
	v_cvt_f32_i32_e32 v156, v156                               // 00000002878C: 7F380B9C
	v_cvt_f32_i32_e32 v157, v157                               // 000000028790: 7F3A0B9D
	v_cvt_f32_i32_e32 v158, v158                               // 000000028794: 7F3C0B9E
	v_cvt_f32_i32_e32 v159, v159                               // 000000028798: 7F3E0B9F
	v_mul_f32_e32 v144, v20, v144                              // 00000002879C: 0B212114
	v_mul_f32_e32 v145, v20, v145                              // 0000000287A0: 0B232314
	v_mul_f32_e32 v146, v20, v146                              // 0000000287A4: 0B252514
	v_mul_f32_e32 v147, v20, v147                              // 0000000287A8: 0B272714
	v_mul_f32_e32 v148, v20, v148                              // 0000000287AC: 0B292914
	v_mul_f32_e32 v149, v20, v149                              // 0000000287B0: 0B2B2B14
	v_mul_f32_e32 v150, v20, v150                              // 0000000287B4: 0B2D2D14
	v_mul_f32_e32 v151, v20, v151                              // 0000000287B8: 0B2F2F14
	v_mul_f32_e32 v152, v20, v152                              // 0000000287BC: 0B313114
	v_mul_f32_e32 v153, v20, v153                              // 0000000287C0: 0B333314
	v_mul_f32_e32 v154, v20, v154                              // 0000000287C4: 0B353514
	v_mul_f32_e32 v155, v20, v155                              // 0000000287C8: 0B373714
	v_mul_f32_e32 v156, v20, v156                              // 0000000287CC: 0B393914
	v_mul_f32_e32 v157, v20, v157                              // 0000000287D0: 0B3B3B14
	v_mul_f32_e32 v158, v20, v158                              // 0000000287D4: 0B3D3D14
	v_mul_f32_e32 v159, v20, v159                              // 0000000287D8: 0B3F3F14
	v_mul_f32_dpp v144, v248, v144 quad_perm:[0,0,0,0] row_mask:0xf bank_mask:0xf// 0000000287DC: 0B2120FA FF0000F8
	v_mul_f32_dpp v145, v248, v145 quad_perm:[1,1,1,1] row_mask:0xf bank_mask:0xf// 0000000287E4: 0B2322FA FF0055F8
	v_mul_f32_dpp v146, v248, v146 quad_perm:[2,2,2,2] row_mask:0xf bank_mask:0xf// 0000000287EC: 0B2524FA FF00AAF8
	v_mul_f32_dpp v147, v248, v147 quad_perm:[3,3,3,3] row_mask:0xf bank_mask:0xf// 0000000287F4: 0B2726FA FF00FFF8
	v_mul_f32_dpp v148, v249, v148 quad_perm:[0,0,0,0] row_mask:0xf bank_mask:0xf// 0000000287FC: 0B2928FA FF0000F9
	v_mul_f32_dpp v149, v249, v149 quad_perm:[1,1,1,1] row_mask:0xf bank_mask:0xf// 000000028804: 0B2B2AFA FF0055F9
	v_mul_f32_dpp v150, v249, v150 quad_perm:[2,2,2,2] row_mask:0xf bank_mask:0xf// 00000002880C: 0B2D2CFA FF00AAF9
	v_mul_f32_dpp v151, v249, v151 quad_perm:[3,3,3,3] row_mask:0xf bank_mask:0xf// 000000028814: 0B2F2EFA FF00FFF9
	v_mul_f32_dpp v152, v250, v152 quad_perm:[0,0,0,0] row_mask:0xf bank_mask:0xf// 00000002881C: 0B3130FA FF0000FA
	v_mul_f32_dpp v153, v250, v153 quad_perm:[1,1,1,1] row_mask:0xf bank_mask:0xf// 000000028824: 0B3332FA FF0055FA
	v_mul_f32_dpp v154, v250, v154 quad_perm:[2,2,2,2] row_mask:0xf bank_mask:0xf// 00000002882C: 0B3534FA FF00AAFA
	v_mul_f32_dpp v155, v250, v155 quad_perm:[3,3,3,3] row_mask:0xf bank_mask:0xf// 000000028834: 0B3736FA FF00FFFA
	v_mul_f32_dpp v156, v251, v156 quad_perm:[0,0,0,0] row_mask:0xf bank_mask:0xf// 00000002883C: 0B3938FA FF0000FB
	v_mul_f32_dpp v157, v251, v157 quad_perm:[1,1,1,1] row_mask:0xf bank_mask:0xf// 000000028844: 0B3B3AFA FF0055FB
	v_mul_f32_dpp v158, v251, v158 quad_perm:[2,2,2,2] row_mask:0xf bank_mask:0xf// 00000002884C: 0B3D3CFA FF00AAFB
	v_mul_f32_dpp v159, v251, v159 quad_perm:[3,3,3,3] row_mask:0xf bank_mask:0xf// 000000028854: 0B3F3EFA FF00FFFB
	s_and_b32 s60, s72, 0xff                                   // 00000002885C: 863CFF48 000000FF
	v_mov_b32_e32 v65, s60                                     // 000000028864: 7E82023C
	v_lshrrev_b32_e32 v240, 4, v0                              // 000000028868: 21E00084
	v_mul_i32_i24_e32 v240, 4, v240                            // 00000002886C: 0DE1E084
	s_mul_i32 s60, s7, 16                                      // 000000028870: 923C9007
	v_add_u32_e32 v240, s60, v240                              // 000000028874: 69E1E03C
	v_add_u32_e32 v241, 1, v240                                // 000000028878: 69E3E081
	v_add_u32_e32 v242, 2, v240                                // 00000002887C: 69E5E082
	v_add_u32_e32 v243, 3, v240                                // 000000028880: 69E7E083
	v_mov_b32_e32 v64, 0xff800000                              // 000000028884: 7E8002FF FF800000
	v_cmp_lt_u32_e64 s[40:41], v240, v65                       // 00000002888C: D0C90028 000283F0
	v_add_u32_e32 v240, 64, v240                               // 000000028894: 69E1E0C0
	s_nop 0                                                    // 000000028898: BF800000
	v_cndmask_b32_e64 v144, v64, v144, s[40:41]                // 00000002889C: D1000090 00A32140
	v_cmp_lt_u32_e64 s[40:41], v241, v65                       // 0000000288A4: D0C90028 000283F1
	v_add_u32_e32 v241, 64, v241                               // 0000000288AC: 69E3E2C0
	s_nop 0                                                    // 0000000288B0: BF800000
	v_cndmask_b32_e64 v145, v64, v145, s[40:41]                // 0000000288B4: D1000091 00A32340
	v_cmp_lt_u32_e64 s[40:41], v242, v65                       // 0000000288BC: D0C90028 000283F2
	v_add_u32_e32 v242, 64, v242                               // 0000000288C4: 69E5E4C0
	s_nop 0                                                    // 0000000288C8: BF800000
	v_cndmask_b32_e64 v146, v64, v146, s[40:41]                // 0000000288CC: D1000092 00A32540
	v_cmp_lt_u32_e64 s[40:41], v243, v65                       // 0000000288D4: D0C90028 000283F3
	v_add_u32_e32 v243, 64, v243                               // 0000000288DC: 69E7E6C0
	s_nop 0                                                    // 0000000288E0: BF800000
	v_cndmask_b32_e64 v147, v64, v147, s[40:41]                // 0000000288E4: D1000093 00A32740
	v_cmp_lt_u32_e64 s[40:41], v240, v65                       // 0000000288EC: D0C90028 000283F0
	v_add_u32_e32 v240, 64, v240                               // 0000000288F4: 69E1E0C0
	s_nop 0                                                    // 0000000288F8: BF800000
	v_cndmask_b32_e64 v148, v64, v148, s[40:41]                // 0000000288FC: D1000094 00A32940
	v_cmp_lt_u32_e64 s[40:41], v241, v65                       // 000000028904: D0C90028 000283F1
	v_add_u32_e32 v241, 64, v241                               // 00000002890C: 69E3E2C0
	s_nop 0                                                    // 000000028910: BF800000
	v_cndmask_b32_e64 v149, v64, v149, s[40:41]                // 000000028914: D1000095 00A32B40
	v_cmp_lt_u32_e64 s[40:41], v242, v65                       // 00000002891C: D0C90028 000283F2
	v_add_u32_e32 v242, 64, v242                               // 000000028924: 69E5E4C0
	s_nop 0                                                    // 000000028928: BF800000
	v_cndmask_b32_e64 v150, v64, v150, s[40:41]                // 00000002892C: D1000096 00A32D40
	v_cmp_lt_u32_e64 s[40:41], v243, v65                       // 000000028934: D0C90028 000283F3
	v_add_u32_e32 v243, 64, v243                               // 00000002893C: 69E7E6C0
	s_nop 0                                                    // 000000028940: BF800000
	v_cndmask_b32_e64 v151, v64, v151, s[40:41]                // 000000028944: D1000097 00A32F40
	v_cmp_lt_u32_e64 s[40:41], v240, v65                       // 00000002894C: D0C90028 000283F0
	v_add_u32_e32 v240, 64, v240                               // 000000028954: 69E1E0C0
	s_nop 0                                                    // 000000028958: BF800000
	v_cndmask_b32_e64 v152, v64, v152, s[40:41]                // 00000002895C: D1000098 00A33140
	v_cmp_lt_u32_e64 s[40:41], v241, v65                       // 000000028964: D0C90028 000283F1
	v_add_u32_e32 v241, 64, v241                               // 00000002896C: 69E3E2C0
	s_nop 0                                                    // 000000028970: BF800000
	v_cndmask_b32_e64 v153, v64, v153, s[40:41]                // 000000028974: D1000099 00A33340
	v_cmp_lt_u32_e64 s[40:41], v242, v65                       // 00000002897C: D0C90028 000283F2
	v_add_u32_e32 v242, 64, v242                               // 000000028984: 69E5E4C0
	s_nop 0                                                    // 000000028988: BF800000
	v_cndmask_b32_e64 v154, v64, v154, s[40:41]                // 00000002898C: D100009A 00A33540
	v_cmp_lt_u32_e64 s[40:41], v243, v65                       // 000000028994: D0C90028 000283F3
	v_add_u32_e32 v243, 64, v243                               // 00000002899C: 69E7E6C0
	s_nop 0                                                    // 0000000289A0: BF800000
	v_cndmask_b32_e64 v155, v64, v155, s[40:41]                // 0000000289A4: D100009B 00A33740
	v_cmp_lt_u32_e64 s[40:41], v240, v65                       // 0000000289AC: D0C90028 000283F0
	v_add_u32_e32 v240, 64, v240                               // 0000000289B4: 69E1E0C0
	s_nop 0                                                    // 0000000289B8: BF800000
	v_cndmask_b32_e64 v156, v64, v156, s[40:41]                // 0000000289BC: D100009C 00A33940
	v_cmp_lt_u32_e64 s[40:41], v241, v65                       // 0000000289C4: D0C90028 000283F1
	v_add_u32_e32 v241, 64, v241                               // 0000000289CC: 69E3E2C0
	s_nop 0                                                    // 0000000289D0: BF800000
	v_cndmask_b32_e64 v157, v64, v157, s[40:41]                // 0000000289D4: D100009D 00A33B40
	v_cmp_lt_u32_e64 s[40:41], v242, v65                       // 0000000289DC: D0C90028 000283F2
	v_add_u32_e32 v242, 64, v242                               // 0000000289E4: 69E5E4C0
	s_nop 0                                                    // 0000000289E8: BF800000
	v_cndmask_b32_e64 v158, v64, v158, s[40:41]                // 0000000289EC: D100009E 00A33D40
	v_cmp_lt_u32_e64 s[40:41], v243, v65                       // 0000000289F4: D0C90028 000283F3
	v_add_u32_e32 v243, 64, v243                               // 0000000289FC: 69E7E6C0
	s_nop 0                                                    // 000000028A00: BF800000
	v_cndmask_b32_e64 v159, v64, v159, s[40:41]                // 000000028A04: D100009F 00A33F40
	v_mov_b32_e32 v48, v144                                    // 000000028A0C: 7E600390
	v_max3_f32 v48, v144, v145, v48                            // 000000028A10: D1D30030 04C32390
	v_max3_f32 v48, v146, v147, v48                            // 000000028A18: D1D30030 04C32792
	v_max3_f32 v48, v148, v149, v48                            // 000000028A20: D1D30030 04C32B94
	v_max3_f32 v48, v150, v151, v48                            // 000000028A28: D1D30030 04C32F96
	v_max3_f32 v48, v152, v153, v48                            // 000000028A30: D1D30030 04C33398
	v_max3_f32 v48, v154, v155, v48                            // 000000028A38: D1D30030 04C3379A
	v_max3_f32 v48, v156, v157, v48                            // 000000028A40: D1D30030 04C33B9C
	v_max3_f32 v48, v158, v159, v48                            // 000000028A48: D1D30030 04C33F9E
	ds_write_b32 v8, v48 offset:16896                          // 000000028A50: D81A4200 00003008
	v_mul_f32_e32 v224, v51, v224                              // 000000028A58: 0BC1C133
	v_mul_f32_e32 v225, v51, v225                              // 000000028A5C: 0BC3C333
	v_mul_f32_e32 v226, v51, v226                              // 000000028A60: 0BC5C533
	v_mul_f32_e32 v227, v51, v227                              // 000000028A64: 0BC7C733
	v_mul_f32_e32 v228, v51, v228                              // 000000028A68: 0BC9C933
	v_mul_f32_e32 v229, v51, v229                              // 000000028A6C: 0BCBCB33
	v_mul_f32_e32 v230, v51, v230                              // 000000028A70: 0BCDCD33
	v_mul_f32_e32 v231, v51, v231                              // 000000028A74: 0BCFCF33
	s_waitcnt lgkmcnt(0)                                       // 000000028A78: BF8CC07F
	s_barrier                                                  // 000000028A7C: BF8A0000
	ds_read_b32 v64, v7 offset:16896                           // 000000028A80: D86C4200 40000007
	ds_read_b32 v65, v7 offset:16960                           // 000000028A88: D86C4240 41000007
	ds_read_b32 v66, v7 offset:17024                           // 000000028A90: D86C4280 42000007
	ds_read_b32 v67, v7 offset:17088                           // 000000028A98: D86C42C0 43000007
	ds_read_b32 v68, v7 offset:17152                           // 000000028AA0: D86C4300 44000007
	ds_read_b32 v69, v7 offset:17216                           // 000000028AA8: D86C4340 45000007
	ds_read_b32 v70, v7 offset:17280                           // 000000028AB0: D86C4380 46000007
	ds_read_b32 v71, v7 offset:17344                           // 000000028AB8: D86C43C0 47000007
	ds_read_b32 v72, v7 offset:17408                           // 000000028AC0: D86C4400 48000007
	ds_read_b32 v73, v7 offset:17472                           // 000000028AC8: D86C4440 49000007
	ds_read_b32 v74, v7 offset:17536                           // 000000028AD0: D86C4480 4A000007
	ds_read_b32 v75, v7 offset:17600                           // 000000028AD8: D86C44C0 4B000007
	ds_read_b32 v76, v7 offset:17664                           // 000000028AE0: D86C4500 4C000007
	ds_read_b32 v77, v7 offset:17728                           // 000000028AE8: D86C4540 4D000007
	ds_read_b32 v78, v7 offset:17792                           // 000000028AF0: D86C4580 4E000007
	ds_read_b32 v79, v7 offset:17856                           // 000000028AF8: D86C45C0 4F000007
	v_cvt_f32_i32_e32 v192, v192                               // 000000028B00: 7F800BC0
	v_cvt_f32_i32_e32 v193, v193                               // 000000028B04: 7F820BC1
	v_cvt_f32_i32_e32 v194, v194                               // 000000028B08: 7F840BC2
	v_cvt_f32_i32_e32 v195, v195                               // 000000028B0C: 7F860BC3
	v_cvt_f32_i32_e32 v196, v196                               // 000000028B10: 7F880BC4
	v_cvt_f32_i32_e32 v197, v197                               // 000000028B14: 7F8A0BC5
	v_cvt_f32_i32_e32 v198, v198                               // 000000028B18: 7F8C0BC6
	v_cvt_f32_i32_e32 v199, v199                               // 000000028B1C: 7F8E0BC7
	v_mul_f32_e32 v192, v46, v192                              // 000000028B20: 0B81812E
	v_mul_f32_e32 v193, v46, v193                              // 000000028B24: 0B83832E
	v_mul_f32_e32 v194, v46, v194                              // 000000028B28: 0B85852E
	v_mul_f32_e32 v195, v46, v195                              // 000000028B2C: 0B87872E
	v_mul_f32_e32 v196, v46, v196                              // 000000028B30: 0B89892E
	v_mul_f32_e32 v197, v46, v197                              // 000000028B34: 0B8B8B2E
	v_mul_f32_e32 v198, v46, v198                              // 000000028B38: 0B8D8D2E
	v_mul_f32_e32 v199, v46, v199                              // 000000028B3C: 0B8F8F2E
	s_waitcnt lgkmcnt(0)                                       // 000000028B40: BF8CC07F
	v_max3_f32 v48, v64, v65, v48                              // 000000028B44: D1D30030 04C28340
	v_max3_f32 v48, v66, v67, v48                              // 000000028B4C: D1D30030 04C28742
	v_max3_f32 v48, v68, v69, v48                              // 000000028B54: D1D30030 04C28B44
	v_max3_f32 v48, v70, v71, v48                              // 000000028B5C: D1D30030 04C28F46
	v_max3_f32 v48, v72, v73, v48                              // 000000028B64: D1D30030 04C29348
	v_max3_f32 v48, v74, v75, v48                              // 000000028B6C: D1D30030 04C2974A
	v_max3_f32 v48, v76, v77, v48                              // 000000028B74: D1D30030 04C29B4C
	v_max3_f32 v48, v78, v79, v48                              // 000000028B7C: D1D30030 04C29F4E
	v_mov_b32_e32 v64, 0xff800000                              // 000000028B84: 7E8002FF FF800000
	v_cmp_eq_u32_e64 s[40:41], v64, v13                        // 000000028B8C: D0CA0028 00021B40
	s_nop 1                                                    // 000000028B94: BF800001
	v_max_f32_e32 v15, v48, v13                                // 000000028B98: 161E1B30
	v_mul_f32_e32 v53, s64, v15                                // 000000028B9C: 0A6A1E40
	v_fma_f32 v144, v144, s64, -v53                            // 000000028BA0: D1CB0090 84D48190
	v_fma_f32 v145, v145, s64, -v53                            // 000000028BA8: D1CB0091 84D48191
	v_fma_f32 v146, v146, s64, -v53                            // 000000028BB0: D1CB0092 84D48192
	v_fma_f32 v147, v147, s64, -v53                            // 000000028BB8: D1CB0093 84D48193
	v_fma_f32 v148, v148, s64, -v53                            // 000000028BC0: D1CB0094 84D48194
	v_fma_f32 v149, v149, s64, -v53                            // 000000028BC8: D1CB0095 84D48195
	v_fma_f32 v150, v150, s64, -v53                            // 000000028BD0: D1CB0096 84D48196
	v_fma_f32 v151, v151, s64, -v53                            // 000000028BD8: D1CB0097 84D48197
	v_fma_f32 v152, v152, s64, -v53                            // 000000028BE0: D1CB0098 84D48198
	v_fma_f32 v153, v153, s64, -v53                            // 000000028BE8: D1CB0099 84D48199
	v_fma_f32 v154, v154, s64, -v53                            // 000000028BF0: D1CB009A 84D4819A
	v_fma_f32 v155, v155, s64, -v53                            // 000000028BF8: D1CB009B 84D4819B
	v_fma_f32 v156, v156, s64, -v53                            // 000000028C00: D1CB009C 84D4819C
	v_fma_f32 v157, v157, s64, -v53                            // 000000028C08: D1CB009D 84D4819D
	v_fma_f32 v158, v158, s64, -v53                            // 000000028C10: D1CB009E 84D4819E
	v_fma_f32 v159, v159, s64, -v53                            // 000000028C18: D1CB009F 84D4819F
	v_exp_f32_e32 v144, v144                                   // 000000028C20: 7F204190
	v_exp_f32_e32 v145, v145                                   // 000000028C24: 7F224191
	v_exp_f32_e32 v146, v146                                   // 000000028C28: 7F244192
	v_exp_f32_e32 v147, v147                                   // 000000028C2C: 7F264193
	v_exp_f32_e32 v148, v148                                   // 000000028C30: 7F284194
	v_exp_f32_e32 v149, v149                                   // 000000028C34: 7F2A4195
	v_exp_f32_e32 v150, v150                                   // 000000028C38: 7F2C4196
	v_exp_f32_e32 v151, v151                                   // 000000028C3C: 7F2E4197
	v_exp_f32_e32 v152, v152                                   // 000000028C40: 7F304198
	v_exp_f32_e32 v153, v153                                   // 000000028C44: 7F324199
	v_exp_f32_e32 v154, v154                                   // 000000028C48: 7F34419A
	v_exp_f32_e32 v155, v155                                   // 000000028C4C: 7F36419B
	v_exp_f32_e32 v156, v156                                   // 000000028C50: 7F38419C
	v_exp_f32_e32 v157, v157                                   // 000000028C54: 7F3A419D
	v_exp_f32_e32 v158, v158                                   // 000000028C58: 7F3C419E
	v_exp_f32_e32 v159, v159                                   // 000000028C5C: 7F3E419F
	v_mul_f32_dpp v240, v252, v144 quad_perm:[0,0,0,0] row_mask:0xf bank_mask:0xf// 000000028C60: 0BE120FA FF0000FC
	v_mul_f32_dpp v241, v252, v145 quad_perm:[1,1,1,1] row_mask:0xf bank_mask:0xf// 000000028C68: 0BE322FA FF0055FC
	v_mul_f32_dpp v242, v252, v146 quad_perm:[2,2,2,2] row_mask:0xf bank_mask:0xf// 000000028C70: 0BE524FA FF00AAFC
	v_mul_f32_dpp v243, v252, v147 quad_perm:[3,3,3,3] row_mask:0xf bank_mask:0xf// 000000028C78: 0BE726FA FF00FFFC
	v_mul_f32_dpp v244, v253, v148 quad_perm:[0,0,0,0] row_mask:0xf bank_mask:0xf// 000000028C80: 0BE928FA FF0000FD
	v_mul_f32_dpp v245, v253, v149 quad_perm:[1,1,1,1] row_mask:0xf bank_mask:0xf// 000000028C88: 0BEB2AFA FF0055FD
	v_mul_f32_dpp v246, v253, v150 quad_perm:[2,2,2,2] row_mask:0xf bank_mask:0xf// 000000028C90: 0BED2CFA FF00AAFD
	v_mul_f32_dpp v247, v253, v151 quad_perm:[3,3,3,3] row_mask:0xf bank_mask:0xf// 000000028C98: 0BEF2EFA FF00FFFD
	v_mul_f32_dpp v248, v254, v152 quad_perm:[0,0,0,0] row_mask:0xf bank_mask:0xf// 000000028CA0: 0BF130FA FF0000FE
	v_mul_f32_dpp v249, v254, v153 quad_perm:[1,1,1,1] row_mask:0xf bank_mask:0xf// 000000028CA8: 0BF332FA FF0055FE
	v_mul_f32_dpp v250, v254, v154 quad_perm:[2,2,2,2] row_mask:0xf bank_mask:0xf// 000000028CB0: 0BF534FA FF00AAFE
	v_mul_f32_dpp v251, v254, v155 quad_perm:[3,3,3,3] row_mask:0xf bank_mask:0xf// 000000028CB8: 0BF736FA FF00FFFE
	v_mul_f32_dpp v252, v255, v156 quad_perm:[0,0,0,0] row_mask:0xf bank_mask:0xf// 000000028CC0: 0BF938FA FF0000FF
	v_mul_f32_dpp v253, v255, v157 quad_perm:[1,1,1,1] row_mask:0xf bank_mask:0xf// 000000028CC8: 0BFB3AFA FF0055FF
	v_mul_f32_dpp v254, v255, v158 quad_perm:[2,2,2,2] row_mask:0xf bank_mask:0xf// 000000028CD0: 0BFD3CFA FF00AAFF
	v_mul_f32_dpp v255, v255, v159 quad_perm:[3,3,3,3] row_mask:0xf bank_mask:0xf// 000000028CD8: 0BFF3EFA FF00FFFF
	v_mov_b32_e32 v48, 0x358637bd                              // 000000028CE0: 7E6002FF 358637BD
	v_max3_f32 v48, |v240|, |v241|, v48                        // 000000028CE8: D1D30330 04C3E3F0
	v_max3_f32 v48, |v242|, |v243|, v48                        // 000000028CF0: D1D30330 04C3E7F2
	v_max3_f32 v48, |v244|, |v245|, v48                        // 000000028CF8: D1D30330 04C3EBF4
	v_max3_f32 v48, |v246|, |v247|, v48                        // 000000028D00: D1D30330 04C3EFF6
	v_max3_f32 v48, |v248|, |v249|, v48                        // 000000028D08: D1D30330 04C3F3F8
	v_max3_f32 v48, |v250|, |v251|, v48                        // 000000028D10: D1D30330 04C3F7FA
	v_max3_f32 v48, |v252|, |v253|, v48                        // 000000028D18: D1D30330 04C3FBFC
	v_max3_f32 v48, |v254|, |v255|, v48                        // 000000028D20: D1D30330 04C3FFFE
	ds_write_b32 v8, v48 offset:20992                          // 000000028D28: D81A5200 00003008
	v_sub_f32_e32 v51, v13, v15                                // 000000028D30: 04661F0D
	v_cndmask_b32_e64 v51, v51, 0, s[40:41]                    // 000000028D34: D1000033 00A10133
	v_mov_b32_e32 v13, v15                                     // 000000028D3C: 7E1A030F
	v_mul_f32_e32 v51, s64, v51                                // 000000028D40: 0A666640
	v_exp_f32_e32 v51, v51                                     // 000000028D44: 7E664133
	s_waitcnt lgkmcnt(0)                                       // 000000028D48: BF8CC07F
	s_barrier                                                  // 000000028D4C: BF8A0000
	ds_read_b32 v64, v7 offset:20992                           // 000000028D50: D86C5200 40000007
	ds_read_b32 v65, v7 offset:21056                           // 000000028D58: D86C5240 41000007
	ds_read_b32 v66, v7 offset:21120                           // 000000028D60: D86C5280 42000007
	ds_read_b32 v67, v7 offset:21184                           // 000000028D68: D86C52C0 43000007
	ds_read_b32 v68, v7 offset:21248                           // 000000028D70: D86C5300 44000007
	ds_read_b32 v69, v7 offset:21312                           // 000000028D78: D86C5340 45000007
	ds_read_b32 v70, v7 offset:21376                           // 000000028D80: D86C5380 46000007
	ds_read_b32 v71, v7 offset:21440                           // 000000028D88: D86C53C0 47000007
	ds_read_b32 v72, v7 offset:21504                           // 000000028D90: D86C5400 48000007
	ds_read_b32 v73, v7 offset:21568                           // 000000028D98: D86C5440 49000007
	ds_read_b32 v74, v7 offset:21632                           // 000000028DA0: D86C5480 4A000007
	ds_read_b32 v75, v7 offset:21696                           // 000000028DA8: D86C54C0 4B000007
	ds_read_b32 v76, v7 offset:21760                           // 000000028DB0: D86C5500 4C000007
	ds_read_b32 v77, v7 offset:21824                           // 000000028DB8: D86C5540 4D000007
	ds_read_b32 v78, v7 offset:21888                           // 000000028DC0: D86C5580 4E000007
	ds_read_b32 v79, v7 offset:21952                           // 000000028DC8: D86C55C0 4F000007
	v_mul_f32_e32 v40, v51, v40                                // 000000028DD0: 0A505133
	v_mov_b32_e32 v15, v144                                    // 000000028DD4: 7E1E0390
	v_add_f32_e32 v15, v145, v15                               // 000000028DD8: 021E1F91
	v_add_f32_e32 v15, v146, v15                               // 000000028DDC: 021E1F92
	v_add_f32_e32 v15, v147, v15                               // 000000028DE0: 021E1F93
	v_add_f32_e32 v15, v148, v15                               // 000000028DE4: 021E1F94
	v_add_f32_e32 v15, v149, v15                               // 000000028DE8: 021E1F95
	v_add_f32_e32 v15, v150, v15                               // 000000028DEC: 021E1F96
	v_add_f32_e32 v15, v151, v15                               // 000000028DF0: 021E1F97
	v_add_f32_e32 v15, v152, v15                               // 000000028DF4: 021E1F98
	v_add_f32_e32 v15, v153, v15                               // 000000028DF8: 021E1F99
	v_add_f32_e32 v15, v154, v15                               // 000000028DFC: 021E1F9A
	v_add_f32_e32 v15, v155, v15                               // 000000028E00: 021E1F9B
	v_add_f32_e32 v15, v156, v15                               // 000000028E04: 021E1F9C
	v_add_f32_e32 v15, v157, v15                               // 000000028E08: 021E1F9D
	v_add_f32_e32 v15, v158, v15                               // 000000028E0C: 021E1F9E
	v_add_f32_e32 v15, v159, v15                               // 000000028E10: 021E1F9F
	v_add_f32_e32 v40, v15, v40                                // 000000028E14: 0250510F
	s_waitcnt lgkmcnt(0)                                       // 000000028E18: BF8CC07F
	v_max3_f32 v48, |v64|, |v65|, v48                          // 000000028E1C: D1D30330 04C28340
	v_max3_f32 v48, |v66|, |v67|, v48                          // 000000028E24: D1D30330 04C28742
	v_max3_f32 v48, |v68|, |v69|, v48                          // 000000028E2C: D1D30330 04C28B44
	v_max3_f32 v48, |v70|, |v71|, v48                          // 000000028E34: D1D30330 04C28F46
	v_max3_f32 v48, |v72|, |v73|, v48                          // 000000028E3C: D1D30330 04C29348
	v_max3_f32 v48, |v74|, |v75|, v48                          // 000000028E44: D1D30330 04C2974A
	v_max3_f32 v48, |v76|, |v77|, v48                          // 000000028E4C: D1D30330 04C29B4C
	v_max3_f32 v48, |v78|, |v79|, v48                          // 000000028E54: D1D30330 04C29F4E
	s_nop 2                                                    // 000000028E5C: BF800002
	v_rcp_f32_e32 v48, v48                                     // 000000028E60: 7E604530
	s_nop 1                                                    // 000000028E64: BF800001
	v_mul_f32_e32 v48, 0x42fe0000, v48                         // 000000028E68: 0A6060FF 42FE0000
	v_mul_f32_e32 v144, v48, v240                              // 000000028E70: 0B21E130
	v_mul_f32_e32 v145, v48, v241                              // 000000028E74: 0B23E330
	v_mul_f32_e32 v146, v48, v242                              // 000000028E78: 0B25E530
	v_mul_f32_e32 v147, v48, v243                              // 000000028E7C: 0B27E730
	v_mul_f32_e32 v148, v48, v244                              // 000000028E80: 0B29E930
	v_mul_f32_e32 v149, v48, v245                              // 000000028E84: 0B2BEB30
	v_mul_f32_e32 v150, v48, v246                              // 000000028E88: 0B2DED30
	v_mul_f32_e32 v151, v48, v247                              // 000000028E8C: 0B2FEF30
	v_mul_f32_e32 v152, v48, v248                              // 000000028E90: 0B31F130
	v_mul_f32_e32 v153, v48, v249                              // 000000028E94: 0B33F330
	v_mul_f32_e32 v154, v48, v250                              // 000000028E98: 0B35F530
	v_mul_f32_e32 v155, v48, v251                              // 000000028E9C: 0B37F730
	v_mul_f32_e32 v156, v48, v252                              // 000000028EA0: 0B39F930
	v_mul_f32_e32 v157, v48, v253                              // 000000028EA4: 0B3BFB30
	v_mul_f32_e32 v158, v48, v254                              // 000000028EA8: 0B3DFD30
	v_mul_f32_e32 v159, v48, v255                              // 000000028EAC: 0B3FFF30
	v_cvt_i32_f32_e32 v144, v144                               // 000000028EB0: 7F201190
	v_cvt_i32_f32_e32 v145, v145                               // 000000028EB4: 7F221191
	v_cvt_i32_f32_e32 v146, v146                               // 000000028EB8: 7F241192
	v_cvt_i32_f32_e32 v147, v147                               // 000000028EBC: 7F261193
	v_cvt_i32_f32_e32 v148, v148                               // 000000028EC0: 7F281194
	v_cvt_i32_f32_e32 v149, v149                               // 000000028EC4: 7F2A1195
	v_cvt_i32_f32_e32 v150, v150                               // 000000028EC8: 7F2C1196
	v_cvt_i32_f32_e32 v151, v151                               // 000000028ECC: 7F2E1197
	v_cvt_i32_f32_e32 v152, v152                               // 000000028ED0: 7F301198
	v_cvt_i32_f32_e32 v153, v153                               // 000000028ED4: 7F321199
	v_cvt_i32_f32_e32 v154, v154                               // 000000028ED8: 7F34119A
	v_cvt_i32_f32_e32 v155, v155                               // 000000028EDC: 7F36119B
	v_cvt_i32_f32_e32 v156, v156                               // 000000028EE0: 7F38119C
	v_cvt_i32_f32_e32 v157, v157                               // 000000028EE4: 7F3A119D
	v_cvt_i32_f32_e32 v158, v158                               // 000000028EE8: 7F3C119E
	v_cvt_i32_f32_e32 v159, v159                               // 000000028EEC: 7F3E119F
	v_perm_b32 v144, v145, v144, s53                           // 000000028EF0: D1ED0090 00D72191
	v_perm_b32 v144, v146, v144, s54                           // 000000028EF8: D1ED0090 00DB2192
	v_perm_b32 v144, v147, v144, s55                           // 000000028F00: D1ED0090 00DF2193
	v_perm_b32 v145, v149, v148, s53                           // 000000028F08: D1ED0091 00D72995
	v_perm_b32 v145, v150, v145, s54                           // 000000028F10: D1ED0091 00DB2396
	v_perm_b32 v145, v151, v145, s55                           // 000000028F18: D1ED0091 00DF2397
	v_perm_b32 v146, v153, v152, s53                           // 000000028F20: D1ED0092 00D73199
	v_perm_b32 v146, v154, v146, s54                           // 000000028F28: D1ED0092 00DB259A
	v_perm_b32 v146, v155, v146, s55                           // 000000028F30: D1ED0092 00DF259B
	v_perm_b32 v147, v157, v156, s53                           // 000000028F38: D1ED0093 00D7399D
	v_perm_b32 v147, v158, v147, s54                           // 000000028F40: D1ED0093 00DB279E
	v_perm_b32 v147, v159, v147, s55                           // 000000028F48: D1ED0093 00DF279F
	ds_write_b32 v10, v144 offset:33280                        // 000000028F50: D81A8200 0000900A
	ds_write_b32 v10, v145 offset:34304                        // 000000028F58: D81A8600 0000910A
	ds_write_b32 v10, v146 offset:35328                        // 000000028F60: D81A8A00 0000920A
	ds_write_b32 v10, v147 offset:36352                        // 000000028F68: D81A8E00 0000930A
	v_add_f32_e32 v224, v224, v192                             // 000000028F70: 03C181E0
	v_add_f32_e32 v225, v225, v193                             // 000000028F74: 03C383E1
	v_add_f32_e32 v226, v226, v194                             // 000000028F78: 03C585E2
	v_add_f32_e32 v227, v227, v195                             // 000000028F7C: 03C787E3
	v_add_f32_e32 v228, v228, v196                             // 000000028F80: 03C989E4
	v_add_f32_e32 v229, v229, v197                             // 000000028F84: 03CB8BE5
	v_add_f32_e32 v230, v230, v198                             // 000000028F88: 03CD8DE6
	v_add_f32_e32 v231, v231, v199                             // 000000028F8C: 03CF8FE7
	v_rcp_f32_e32 v46, v48                                     // 000000028F90: 7E5C4530
	s_waitcnt lgkmcnt(0)                                       // 000000028F94: BF8CC07F
	s_barrier                                                  // 000000028F98: BF8A0000
	ds_read_b64 v[144:145], v9 offset:33280                    // 000000028F9C: D8EC8200 90000009
	ds_read_b64 v[146:147], v9 offset:33408                    // 000000028FA4: D8EC8280 92000009
	ds_read_b64 v[148:149], v9 offset:34304                    // 000000028FAC: D8EC8600 94000009
	ds_read_b64 v[150:151], v9 offset:34432                    // 000000028FB4: D8EC8680 96000009
	ds_read_b64 v[152:153], v9 offset:35328                    // 000000028FBC: D8EC8A00 98000009
	ds_read_b64 v[154:155], v9 offset:35456                    // 000000028FC4: D8EC8A80 9A000009
	ds_read_b64 v[156:157], v9 offset:36352                    // 000000028FCC: D8EC8E00 9C000009
	ds_read_b64 v[158:159], v9 offset:36480                    // 000000028FD4: D8EC8E80 9E000009
	v_mov_b32_dpp v64, v43 row_shr:4 row_mask:0xf bank_mask:0xf// 000000028FDC: 7E8002FA FF01142B
	v_mov_b32_dpp v65, v43 row_shl:4 row_mask:0xf bank_mask:0xf// 000000028FE4: 7E8202FA FF01042B
	v_cndmask_b32_e64 v248, v43, v64, s[44:45]                 // 000000028FEC: D10000F8 00B2812B
	v_cndmask_b32_e64 v249, v65, v43, s[44:45]                 // 000000028FF4: D10000F9 00B25741
	v_mov_b32_dpp v64, v248 row_shr:8 row_mask:0xf bank_mask:0xf// 000000028FFC: 7E8002FA FF0118F8
	v_mov_b32_dpp v65, v248 row_shl:8 row_mask:0xf bank_mask:0xf// 000000029004: 7E8202FA FF0108F8
	v_mov_b32_dpp v66, v249 row_shr:8 row_mask:0xf bank_mask:0xf// 00000002900C: 7E8402FA FF0118F9
	v_mov_b32_dpp v67, v249 row_shl:8 row_mask:0xf bank_mask:0xf// 000000029014: 7E8602FA FF0108F9
	v_mov_b32_e32 v68, v248                                    // 00000002901C: 7E8803F8
	v_mov_b32_e32 v69, v249                                    // 000000029020: 7E8A03F9
	v_cndmask_b32_e64 v248, v68, v64, s[42:43]                 // 000000029024: D10000F8 00AA8144
	v_cndmask_b32_e64 v250, v68, v65, s[78:79]                 // 00000002902C: D10000FA 013A8344
	v_cndmask_b32_e64 v249, v69, v66, s[42:43]                 // 000000029034: D10000F9 00AA8545
	v_cndmask_b32_e64 v251, v69, v67, s[78:79]                 // 00000002903C: D10000FB 013A8745
	v_mov_b32_dpp v64, v58 row_shr:4 row_mask:0xf bank_mask:0xf// 000000029044: 7E8002FA FF01143A
	v_mov_b32_dpp v65, v58 row_shl:4 row_mask:0xf bank_mask:0xf// 00000002904C: 7E8202FA FF01043A
	v_cndmask_b32_e64 v252, v58, v64, s[44:45]                 // 000000029054: D10000FC 00B2813A
	v_cndmask_b32_e64 v253, v65, v58, s[44:45]                 // 00000002905C: D10000FD 00B27541
	v_mov_b32_dpp v64, v252 row_shr:8 row_mask:0xf bank_mask:0xf// 000000029064: 7E8002FA FF0118FC
	v_mov_b32_dpp v65, v252 row_shl:8 row_mask:0xf bank_mask:0xf// 00000002906C: 7E8202FA FF0108FC
	v_mov_b32_dpp v66, v253 row_shr:8 row_mask:0xf bank_mask:0xf// 000000029074: 7E8402FA FF0118FD
	v_mov_b32_dpp v67, v253 row_shl:8 row_mask:0xf bank_mask:0xf// 00000002907C: 7E8602FA FF0108FD
	v_mov_b32_e32 v68, v252                                    // 000000029084: 7E8803FC
	v_mov_b32_e32 v69, v253                                    // 000000029088: 7E8A03FD
	v_cndmask_b32_e64 v252, v68, v64, s[42:43]                 // 00000002908C: D10000FC 00AA8144
	v_cndmask_b32_e64 v254, v68, v65, s[78:79]                 // 000000029094: D10000FE 013A8344
	v_cndmask_b32_e64 v253, v69, v66, s[42:43]                 // 00000002909C: D10000FD 00AA8545
	v_cndmask_b32_e64 v255, v69, v67, s[78:79]                 // 0000000290A4: D10000FF 013A8745
	v_cvt_f32_i32_e32 v160, v160                               // 0000000290AC: 7F400BA0
	v_cvt_f32_i32_e32 v161, v161                               // 0000000290B0: 7F420BA1
	v_cvt_f32_i32_e32 v162, v162                               // 0000000290B4: 7F440BA2
	v_cvt_f32_i32_e32 v163, v163                               // 0000000290B8: 7F460BA3
	v_cvt_f32_i32_e32 v164, v164                               // 0000000290BC: 7F480BA4
	v_cvt_f32_i32_e32 v165, v165                               // 0000000290C0: 7F4A0BA5
	v_cvt_f32_i32_e32 v166, v166                               // 0000000290C4: 7F4C0BA6
	v_cvt_f32_i32_e32 v167, v167                               // 0000000290C8: 7F4E0BA7
	v_cvt_f32_i32_e32 v168, v168                               // 0000000290CC: 7F500BA8
	v_cvt_f32_i32_e32 v169, v169                               // 0000000290D0: 7F520BA9
	v_cvt_f32_i32_e32 v170, v170                               // 0000000290D4: 7F540BAA
	v_cvt_f32_i32_e32 v171, v171                               // 0000000290D8: 7F560BAB
	v_cvt_f32_i32_e32 v172, v172                               // 0000000290DC: 7F580BAC
	v_cvt_f32_i32_e32 v173, v173                               // 0000000290E0: 7F5A0BAD
	v_cvt_f32_i32_e32 v174, v174                               // 0000000290E4: 7F5C0BAE
	v_cvt_f32_i32_e32 v175, v175                               // 0000000290E8: 7F5E0BAF
	v_mul_f32_e32 v160, v21, v160                              // 0000000290EC: 0B414115
	v_mul_f32_e32 v161, v21, v161                              // 0000000290F0: 0B434315
	v_mul_f32_e32 v162, v21, v162                              // 0000000290F4: 0B454515
	v_mul_f32_e32 v163, v21, v163                              // 0000000290F8: 0B474715
	v_mul_f32_e32 v164, v21, v164                              // 0000000290FC: 0B494915
	v_mul_f32_e32 v165, v21, v165                              // 000000029100: 0B4B4B15
	v_mul_f32_e32 v166, v21, v166                              // 000000029104: 0B4D4D15
	v_mul_f32_e32 v167, v21, v167                              // 000000029108: 0B4F4F15
	v_mul_f32_e32 v168, v21, v168                              // 00000002910C: 0B515115
	v_mul_f32_e32 v169, v21, v169                              // 000000029110: 0B535315
	v_mul_f32_e32 v170, v21, v170                              // 000000029114: 0B555515
	v_mul_f32_e32 v171, v21, v171                              // 000000029118: 0B575715
	v_mul_f32_e32 v172, v21, v172                              // 00000002911C: 0B595915
	v_mul_f32_e32 v173, v21, v173                              // 000000029120: 0B5B5B15
	v_mul_f32_e32 v174, v21, v174                              // 000000029124: 0B5D5D15
	v_mul_f32_e32 v175, v21, v175                              // 000000029128: 0B5F5F15
	v_mul_f32_dpp v160, v248, v160 quad_perm:[0,0,0,0] row_mask:0xf bank_mask:0xf// 00000002912C: 0B4140FA FF0000F8
	v_mul_f32_dpp v161, v248, v161 quad_perm:[1,1,1,1] row_mask:0xf bank_mask:0xf// 000000029134: 0B4342FA FF0055F8
	v_mul_f32_dpp v162, v248, v162 quad_perm:[2,2,2,2] row_mask:0xf bank_mask:0xf// 00000002913C: 0B4544FA FF00AAF8
	v_mul_f32_dpp v163, v248, v163 quad_perm:[3,3,3,3] row_mask:0xf bank_mask:0xf// 000000029144: 0B4746FA FF00FFF8
	v_mul_f32_dpp v164, v249, v164 quad_perm:[0,0,0,0] row_mask:0xf bank_mask:0xf// 00000002914C: 0B4948FA FF0000F9
	v_mul_f32_dpp v165, v249, v165 quad_perm:[1,1,1,1] row_mask:0xf bank_mask:0xf// 000000029154: 0B4B4AFA FF0055F9
	v_mul_f32_dpp v166, v249, v166 quad_perm:[2,2,2,2] row_mask:0xf bank_mask:0xf// 00000002915C: 0B4D4CFA FF00AAF9
	v_mul_f32_dpp v167, v249, v167 quad_perm:[3,3,3,3] row_mask:0xf bank_mask:0xf// 000000029164: 0B4F4EFA FF00FFF9
	v_mul_f32_dpp v168, v250, v168 quad_perm:[0,0,0,0] row_mask:0xf bank_mask:0xf// 00000002916C: 0B5150FA FF0000FA
	v_mul_f32_dpp v169, v250, v169 quad_perm:[1,1,1,1] row_mask:0xf bank_mask:0xf// 000000029174: 0B5352FA FF0055FA
	v_mul_f32_dpp v170, v250, v170 quad_perm:[2,2,2,2] row_mask:0xf bank_mask:0xf// 00000002917C: 0B5554FA FF00AAFA
	v_mul_f32_dpp v171, v250, v171 quad_perm:[3,3,3,3] row_mask:0xf bank_mask:0xf// 000000029184: 0B5756FA FF00FFFA
	v_mul_f32_dpp v172, v251, v172 quad_perm:[0,0,0,0] row_mask:0xf bank_mask:0xf// 00000002918C: 0B5958FA FF0000FB
	v_mul_f32_dpp v173, v251, v173 quad_perm:[1,1,1,1] row_mask:0xf bank_mask:0xf// 000000029194: 0B5B5AFA FF0055FB
	v_mul_f32_dpp v174, v251, v174 quad_perm:[2,2,2,2] row_mask:0xf bank_mask:0xf// 00000002919C: 0B5D5CFA FF00AAFB
	v_mul_f32_dpp v175, v251, v175 quad_perm:[3,3,3,3] row_mask:0xf bank_mask:0xf// 0000000291A4: 0B5F5EFA FF00FFFB
	s_and_b32 s60, s72, 0xff                                   // 0000000291AC: 863CFF48 000000FF
	v_mov_b32_e32 v65, s60                                     // 0000000291B4: 7E82023C
	v_lshrrev_b32_e32 v240, 4, v0                              // 0000000291B8: 21E00084
	v_mul_i32_i24_e32 v240, 4, v240                            // 0000000291BC: 0DE1E084
	s_mul_i32 s60, s7, 16                                      // 0000000291C0: 923C9007
	v_add_u32_e32 v240, s60, v240                              // 0000000291C4: 69E1E03C
	v_add_u32_e32 v241, 1, v240                                // 0000000291C8: 69E3E081
	v_add_u32_e32 v242, 2, v240                                // 0000000291CC: 69E5E082
	v_add_u32_e32 v243, 3, v240                                // 0000000291D0: 69E7E083
	v_mov_b32_e32 v64, 0xff800000                              // 0000000291D4: 7E8002FF FF800000
	v_cmp_lt_u32_e64 s[40:41], v240, v65                       // 0000000291DC: D0C90028 000283F0
	v_add_u32_e32 v240, 64, v240                               // 0000000291E4: 69E1E0C0
	s_nop 0                                                    // 0000000291E8: BF800000
	v_cndmask_b32_e64 v160, v64, v160, s[40:41]                // 0000000291EC: D10000A0 00A34140
	v_cmp_lt_u32_e64 s[40:41], v241, v65                       // 0000000291F4: D0C90028 000283F1
	v_add_u32_e32 v241, 64, v241                               // 0000000291FC: 69E3E2C0
	s_nop 0                                                    // 000000029200: BF800000
	v_cndmask_b32_e64 v161, v64, v161, s[40:41]                // 000000029204: D10000A1 00A34340
	v_cmp_lt_u32_e64 s[40:41], v242, v65                       // 00000002920C: D0C90028 000283F2
	v_add_u32_e32 v242, 64, v242                               // 000000029214: 69E5E4C0
	s_nop 0                                                    // 000000029218: BF800000
	v_cndmask_b32_e64 v162, v64, v162, s[40:41]                // 00000002921C: D10000A2 00A34540
	v_cmp_lt_u32_e64 s[40:41], v243, v65                       // 000000029224: D0C90028 000283F3
	v_add_u32_e32 v243, 64, v243                               // 00000002922C: 69E7E6C0
	s_nop 0                                                    // 000000029230: BF800000
	v_cndmask_b32_e64 v163, v64, v163, s[40:41]                // 000000029234: D10000A3 00A34740
	v_cmp_lt_u32_e64 s[40:41], v240, v65                       // 00000002923C: D0C90028 000283F0
	v_add_u32_e32 v240, 64, v240                               // 000000029244: 69E1E0C0
	s_nop 0                                                    // 000000029248: BF800000
	v_cndmask_b32_e64 v164, v64, v164, s[40:41]                // 00000002924C: D10000A4 00A34940
	v_cmp_lt_u32_e64 s[40:41], v241, v65                       // 000000029254: D0C90028 000283F1
	v_add_u32_e32 v241, 64, v241                               // 00000002925C: 69E3E2C0
	s_nop 0                                                    // 000000029260: BF800000
	v_cndmask_b32_e64 v165, v64, v165, s[40:41]                // 000000029264: D10000A5 00A34B40
	v_cmp_lt_u32_e64 s[40:41], v242, v65                       // 00000002926C: D0C90028 000283F2
	v_add_u32_e32 v242, 64, v242                               // 000000029274: 69E5E4C0
	s_nop 0                                                    // 000000029278: BF800000
	v_cndmask_b32_e64 v166, v64, v166, s[40:41]                // 00000002927C: D10000A6 00A34D40
	v_cmp_lt_u32_e64 s[40:41], v243, v65                       // 000000029284: D0C90028 000283F3
	v_add_u32_e32 v243, 64, v243                               // 00000002928C: 69E7E6C0
	s_nop 0                                                    // 000000029290: BF800000
	v_cndmask_b32_e64 v167, v64, v167, s[40:41]                // 000000029294: D10000A7 00A34F40
	v_cmp_lt_u32_e64 s[40:41], v240, v65                       // 00000002929C: D0C90028 000283F0
	v_add_u32_e32 v240, 64, v240                               // 0000000292A4: 69E1E0C0
	s_nop 0                                                    // 0000000292A8: BF800000
	v_cndmask_b32_e64 v168, v64, v168, s[40:41]                // 0000000292AC: D10000A8 00A35140
	v_cmp_lt_u32_e64 s[40:41], v241, v65                       // 0000000292B4: D0C90028 000283F1
	v_add_u32_e32 v241, 64, v241                               // 0000000292BC: 69E3E2C0
	s_nop 0                                                    // 0000000292C0: BF800000
	v_cndmask_b32_e64 v169, v64, v169, s[40:41]                // 0000000292C4: D10000A9 00A35340
	v_cmp_lt_u32_e64 s[40:41], v242, v65                       // 0000000292CC: D0C90028 000283F2
	v_add_u32_e32 v242, 64, v242                               // 0000000292D4: 69E5E4C0
	s_nop 0                                                    // 0000000292D8: BF800000
	v_cndmask_b32_e64 v170, v64, v170, s[40:41]                // 0000000292DC: D10000AA 00A35540
	v_cmp_lt_u32_e64 s[40:41], v243, v65                       // 0000000292E4: D0C90028 000283F3
	v_add_u32_e32 v243, 64, v243                               // 0000000292EC: 69E7E6C0
	s_nop 0                                                    // 0000000292F0: BF800000
	v_cndmask_b32_e64 v171, v64, v171, s[40:41]                // 0000000292F4: D10000AB 00A35740
	v_cmp_lt_u32_e64 s[40:41], v240, v65                       // 0000000292FC: D0C90028 000283F0
	v_add_u32_e32 v240, 64, v240                               // 000000029304: 69E1E0C0
	s_nop 0                                                    // 000000029308: BF800000
	v_cndmask_b32_e64 v172, v64, v172, s[40:41]                // 00000002930C: D10000AC 00A35940
	v_cmp_lt_u32_e64 s[40:41], v241, v65                       // 000000029314: D0C90028 000283F1
	v_add_u32_e32 v241, 64, v241                               // 00000002931C: 69E3E2C0
	s_nop 0                                                    // 000000029320: BF800000
	v_cndmask_b32_e64 v173, v64, v173, s[40:41]                // 000000029324: D10000AD 00A35B40
	v_cmp_lt_u32_e64 s[40:41], v242, v65                       // 00000002932C: D0C90028 000283F2
	v_add_u32_e32 v242, 64, v242                               // 000000029334: 69E5E4C0
	s_nop 0                                                    // 000000029338: BF800000
	v_cndmask_b32_e64 v174, v64, v174, s[40:41]                // 00000002933C: D10000AE 00A35D40
	v_cmp_lt_u32_e64 s[40:41], v243, v65                       // 000000029344: D0C90028 000283F3
	v_add_u32_e32 v243, 64, v243                               // 00000002934C: 69E7E6C0
	s_nop 0                                                    // 000000029350: BF800000
	v_cndmask_b32_e64 v175, v64, v175, s[40:41]                // 000000029354: D10000AF 00A35F40
	v_mov_b32_e32 v48, v160                                    // 00000002935C: 7E6003A0
	v_max3_f32 v48, v160, v161, v48                            // 000000029360: D1D30030 04C343A0
	v_max3_f32 v48, v162, v163, v48                            // 000000029368: D1D30030 04C347A2
	v_max3_f32 v48, v164, v165, v48                            // 000000029370: D1D30030 04C34BA4
	v_max3_f32 v48, v166, v167, v48                            // 000000029378: D1D30030 04C34FA6
	v_max3_f32 v48, v168, v169, v48                            // 000000029380: D1D30030 04C353A8
	v_max3_f32 v48, v170, v171, v48                            // 000000029388: D1D30030 04C357AA
	v_max3_f32 v48, v172, v173, v48                            // 000000029390: D1D30030 04C35BAC
	v_max3_f32 v48, v174, v175, v48                            // 000000029398: D1D30030 04C35FAE
	ds_write_b32 v8, v48 offset:16896                          // 0000000293A0: D81A4200 00003008
	v_mul_f32_e32 v232, v52, v232                              // 0000000293A8: 0BD1D134
	v_mul_f32_e32 v233, v52, v233                              // 0000000293AC: 0BD3D334
	v_mul_f32_e32 v234, v52, v234                              // 0000000293B0: 0BD5D534
	v_mul_f32_e32 v235, v52, v235                              // 0000000293B4: 0BD7D734
	v_mul_f32_e32 v236, v52, v236                              // 0000000293B8: 0BD9D934
	v_mul_f32_e32 v237, v52, v237                              // 0000000293BC: 0BDBDB34
	v_mul_f32_e32 v238, v52, v238                              // 0000000293C0: 0BDDDD34
	v_mul_f32_e32 v239, v52, v239                              // 0000000293C4: 0BDFDF34
	s_waitcnt lgkmcnt(0)                                       // 0000000293C8: BF8CC07F
	s_barrier                                                  // 0000000293CC: BF8A0000
	ds_read_b32 v64, v7 offset:16896                           // 0000000293D0: D86C4200 40000007
	ds_read_b32 v65, v7 offset:16960                           // 0000000293D8: D86C4240 41000007
	ds_read_b32 v66, v7 offset:17024                           // 0000000293E0: D86C4280 42000007
	ds_read_b32 v67, v7 offset:17088                           // 0000000293E8: D86C42C0 43000007
	ds_read_b32 v68, v7 offset:17152                           // 0000000293F0: D86C4300 44000007
	ds_read_b32 v69, v7 offset:17216                           // 0000000293F8: D86C4340 45000007
	ds_read_b32 v70, v7 offset:17280                           // 000000029400: D86C4380 46000007
	ds_read_b32 v71, v7 offset:17344                           // 000000029408: D86C43C0 47000007
	ds_read_b32 v72, v7 offset:17408                           // 000000029410: D86C4400 48000007
	ds_read_b32 v73, v7 offset:17472                           // 000000029418: D86C4440 49000007
	ds_read_b32 v74, v7 offset:17536                           // 000000029420: D86C4480 4A000007
	ds_read_b32 v75, v7 offset:17600                           // 000000029428: D86C44C0 4B000007
	ds_read_b32 v76, v7 offset:17664                           // 000000029430: D86C4500 4C000007
	ds_read_b32 v77, v7 offset:17728                           // 000000029438: D86C4540 4D000007
	ds_read_b32 v78, v7 offset:17792                           // 000000029440: D86C4580 4E000007
	ds_read_b32 v79, v7 offset:17856                           // 000000029448: D86C45C0 4F000007
	v_cvt_f32_i32_e32 v200, v200                               // 000000029450: 7F900BC8
	v_cvt_f32_i32_e32 v201, v201                               // 000000029454: 7F920BC9
	v_cvt_f32_i32_e32 v202, v202                               // 000000029458: 7F940BCA
	v_cvt_f32_i32_e32 v203, v203                               // 00000002945C: 7F960BCB
	v_cvt_f32_i32_e32 v204, v204                               // 000000029460: 7F980BCC
	v_cvt_f32_i32_e32 v205, v205                               // 000000029464: 7F9A0BCD
	v_cvt_f32_i32_e32 v206, v206                               // 000000029468: 7F9C0BCE
	v_cvt_f32_i32_e32 v207, v207                               // 00000002946C: 7F9E0BCF
	v_mul_f32_e32 v200, v47, v200                              // 000000029470: 0B91912F
	v_mul_f32_e32 v201, v47, v201                              // 000000029474: 0B93932F
	v_mul_f32_e32 v202, v47, v202                              // 000000029478: 0B95952F
	v_mul_f32_e32 v203, v47, v203                              // 00000002947C: 0B97972F
	v_mul_f32_e32 v204, v47, v204                              // 000000029480: 0B99992F
	v_mul_f32_e32 v205, v47, v205                              // 000000029484: 0B9B9B2F
	v_mul_f32_e32 v206, v47, v206                              // 000000029488: 0B9D9D2F
	v_mul_f32_e32 v207, v47, v207                              // 00000002948C: 0B9F9F2F
	s_waitcnt lgkmcnt(0)                                       // 000000029490: BF8CC07F
	v_max3_f32 v48, v64, v65, v48                              // 000000029494: D1D30030 04C28340
	v_max3_f32 v48, v66, v67, v48                              // 00000002949C: D1D30030 04C28742
	v_max3_f32 v48, v68, v69, v48                              // 0000000294A4: D1D30030 04C28B44
	v_max3_f32 v48, v70, v71, v48                              // 0000000294AC: D1D30030 04C28F46
	v_max3_f32 v48, v72, v73, v48                              // 0000000294B4: D1D30030 04C29348
	v_max3_f32 v48, v74, v75, v48                              // 0000000294BC: D1D30030 04C2974A
	v_max3_f32 v48, v76, v77, v48                              // 0000000294C4: D1D30030 04C29B4C
	v_max3_f32 v48, v78, v79, v48                              // 0000000294CC: D1D30030 04C29F4E
	v_mov_b32_e32 v64, 0xff800000                              // 0000000294D4: 7E8002FF FF800000
	v_cmp_eq_u32_e64 s[40:41], v64, v14                        // 0000000294DC: D0CA0028 00021D40
	s_nop 1                                                    // 0000000294E4: BF800001
	v_max_f32_e32 v15, v48, v14                                // 0000000294E8: 161E1D30
	v_mul_f32_e32 v53, s64, v15                                // 0000000294EC: 0A6A1E40
	v_fma_f32 v160, v160, s64, -v53                            // 0000000294F0: D1CB00A0 84D481A0
	v_fma_f32 v161, v161, s64, -v53                            // 0000000294F8: D1CB00A1 84D481A1
	v_fma_f32 v162, v162, s64, -v53                            // 000000029500: D1CB00A2 84D481A2
	v_fma_f32 v163, v163, s64, -v53                            // 000000029508: D1CB00A3 84D481A3
	v_fma_f32 v164, v164, s64, -v53                            // 000000029510: D1CB00A4 84D481A4
	v_fma_f32 v165, v165, s64, -v53                            // 000000029518: D1CB00A5 84D481A5
	v_fma_f32 v166, v166, s64, -v53                            // 000000029520: D1CB00A6 84D481A6
	v_fma_f32 v167, v167, s64, -v53                            // 000000029528: D1CB00A7 84D481A7
	v_fma_f32 v168, v168, s64, -v53                            // 000000029530: D1CB00A8 84D481A8
	v_fma_f32 v169, v169, s64, -v53                            // 000000029538: D1CB00A9 84D481A9
	v_fma_f32 v170, v170, s64, -v53                            // 000000029540: D1CB00AA 84D481AA
	v_fma_f32 v171, v171, s64, -v53                            // 000000029548: D1CB00AB 84D481AB
	v_fma_f32 v172, v172, s64, -v53                            // 000000029550: D1CB00AC 84D481AC
	v_fma_f32 v173, v173, s64, -v53                            // 000000029558: D1CB00AD 84D481AD
	v_fma_f32 v174, v174, s64, -v53                            // 000000029560: D1CB00AE 84D481AE
	v_fma_f32 v175, v175, s64, -v53                            // 000000029568: D1CB00AF 84D481AF
	v_exp_f32_e32 v160, v160                                   // 000000029570: 7F4041A0
	v_exp_f32_e32 v161, v161                                   // 000000029574: 7F4241A1
	v_exp_f32_e32 v162, v162                                   // 000000029578: 7F4441A2
	v_exp_f32_e32 v163, v163                                   // 00000002957C: 7F4641A3
	v_exp_f32_e32 v164, v164                                   // 000000029580: 7F4841A4
	v_exp_f32_e32 v165, v165                                   // 000000029584: 7F4A41A5
	v_exp_f32_e32 v166, v166                                   // 000000029588: 7F4C41A6
	v_exp_f32_e32 v167, v167                                   // 00000002958C: 7F4E41A7
	v_exp_f32_e32 v168, v168                                   // 000000029590: 7F5041A8
	v_exp_f32_e32 v169, v169                                   // 000000029594: 7F5241A9
	v_exp_f32_e32 v170, v170                                   // 000000029598: 7F5441AA
	v_exp_f32_e32 v171, v171                                   // 00000002959C: 7F5641AB
	v_exp_f32_e32 v172, v172                                   // 0000000295A0: 7F5841AC
	v_exp_f32_e32 v173, v173                                   // 0000000295A4: 7F5A41AD
	v_exp_f32_e32 v174, v174                                   // 0000000295A8: 7F5C41AE
	v_exp_f32_e32 v175, v175                                   // 0000000295AC: 7F5E41AF
	v_mul_f32_dpp v240, v252, v160 quad_perm:[0,0,0,0] row_mask:0xf bank_mask:0xf// 0000000295B0: 0BE140FA FF0000FC
	v_mul_f32_dpp v241, v252, v161 quad_perm:[1,1,1,1] row_mask:0xf bank_mask:0xf// 0000000295B8: 0BE342FA FF0055FC
	v_mul_f32_dpp v242, v252, v162 quad_perm:[2,2,2,2] row_mask:0xf bank_mask:0xf// 0000000295C0: 0BE544FA FF00AAFC
	v_mul_f32_dpp v243, v252, v163 quad_perm:[3,3,3,3] row_mask:0xf bank_mask:0xf// 0000000295C8: 0BE746FA FF00FFFC
	v_mul_f32_dpp v244, v253, v164 quad_perm:[0,0,0,0] row_mask:0xf bank_mask:0xf// 0000000295D0: 0BE948FA FF0000FD
	v_mul_f32_dpp v245, v253, v165 quad_perm:[1,1,1,1] row_mask:0xf bank_mask:0xf// 0000000295D8: 0BEB4AFA FF0055FD
	v_mul_f32_dpp v246, v253, v166 quad_perm:[2,2,2,2] row_mask:0xf bank_mask:0xf// 0000000295E0: 0BED4CFA FF00AAFD
	v_mul_f32_dpp v247, v253, v167 quad_perm:[3,3,3,3] row_mask:0xf bank_mask:0xf// 0000000295E8: 0BEF4EFA FF00FFFD
	v_mul_f32_dpp v248, v254, v168 quad_perm:[0,0,0,0] row_mask:0xf bank_mask:0xf// 0000000295F0: 0BF150FA FF0000FE
	v_mul_f32_dpp v249, v254, v169 quad_perm:[1,1,1,1] row_mask:0xf bank_mask:0xf// 0000000295F8: 0BF352FA FF0055FE
	v_mul_f32_dpp v250, v254, v170 quad_perm:[2,2,2,2] row_mask:0xf bank_mask:0xf// 000000029600: 0BF554FA FF00AAFE
	v_mul_f32_dpp v251, v254, v171 quad_perm:[3,3,3,3] row_mask:0xf bank_mask:0xf// 000000029608: 0BF756FA FF00FFFE
	v_mul_f32_dpp v252, v255, v172 quad_perm:[0,0,0,0] row_mask:0xf bank_mask:0xf// 000000029610: 0BF958FA FF0000FF
	v_mul_f32_dpp v253, v255, v173 quad_perm:[1,1,1,1] row_mask:0xf bank_mask:0xf// 000000029618: 0BFB5AFA FF0055FF
	v_mul_f32_dpp v254, v255, v174 quad_perm:[2,2,2,2] row_mask:0xf bank_mask:0xf// 000000029620: 0BFD5CFA FF00AAFF
	v_mul_f32_dpp v255, v255, v175 quad_perm:[3,3,3,3] row_mask:0xf bank_mask:0xf// 000000029628: 0BFF5EFA FF00FFFF
	v_mov_b32_e32 v48, 0x358637bd                              // 000000029630: 7E6002FF 358637BD
	v_max3_f32 v48, |v240|, |v241|, v48                        // 000000029638: D1D30330 04C3E3F0
	v_max3_f32 v48, |v242|, |v243|, v48                        // 000000029640: D1D30330 04C3E7F2
	v_max3_f32 v48, |v244|, |v245|, v48                        // 000000029648: D1D30330 04C3EBF4
	v_max3_f32 v48, |v246|, |v247|, v48                        // 000000029650: D1D30330 04C3EFF6
	v_max3_f32 v48, |v248|, |v249|, v48                        // 000000029658: D1D30330 04C3F3F8
	v_max3_f32 v48, |v250|, |v251|, v48                        // 000000029660: D1D30330 04C3F7FA
	v_max3_f32 v48, |v252|, |v253|, v48                        // 000000029668: D1D30330 04C3FBFC
	v_max3_f32 v48, |v254|, |v255|, v48                        // 000000029670: D1D30330 04C3FFFE
	ds_write_b32 v8, v48 offset:20992                          // 000000029678: D81A5200 00003008
	v_sub_f32_e32 v52, v14, v15                                // 000000029680: 04681F0E
	v_cndmask_b32_e64 v52, v52, 0, s[40:41]                    // 000000029684: D1000034 00A10134
	v_mov_b32_e32 v14, v15                                     // 00000002968C: 7E1C030F
	v_mul_f32_e32 v52, s64, v52                                // 000000029690: 0A686840
	v_exp_f32_e32 v52, v52                                     // 000000029694: 7E684134
	s_waitcnt lgkmcnt(0)                                       // 000000029698: BF8CC07F
	s_barrier                                                  // 00000002969C: BF8A0000
	ds_read_b32 v64, v7 offset:20992                           // 0000000296A0: D86C5200 40000007
	ds_read_b32 v65, v7 offset:21056                           // 0000000296A8: D86C5240 41000007
	ds_read_b32 v66, v7 offset:21120                           // 0000000296B0: D86C5280 42000007
	ds_read_b32 v67, v7 offset:21184                           // 0000000296B8: D86C52C0 43000007
	ds_read_b32 v68, v7 offset:21248                           // 0000000296C0: D86C5300 44000007
	ds_read_b32 v69, v7 offset:21312                           // 0000000296C8: D86C5340 45000007
	ds_read_b32 v70, v7 offset:21376                           // 0000000296D0: D86C5380 46000007
	ds_read_b32 v71, v7 offset:21440                           // 0000000296D8: D86C53C0 47000007
	ds_read_b32 v72, v7 offset:21504                           // 0000000296E0: D86C5400 48000007
	ds_read_b32 v73, v7 offset:21568                           // 0000000296E8: D86C5440 49000007
	ds_read_b32 v74, v7 offset:21632                           // 0000000296F0: D86C5480 4A000007
	ds_read_b32 v75, v7 offset:21696                           // 0000000296F8: D86C54C0 4B000007
	ds_read_b32 v76, v7 offset:21760                           // 000000029700: D86C5500 4C000007
	ds_read_b32 v77, v7 offset:21824                           // 000000029708: D86C5540 4D000007
	ds_read_b32 v78, v7 offset:21888                           // 000000029710: D86C5580 4E000007
	ds_read_b32 v79, v7 offset:21952                           // 000000029718: D86C55C0 4F000007
	v_mul_f32_e32 v41, v52, v41                                // 000000029720: 0A525334
	v_mov_b32_e32 v15, v160                                    // 000000029724: 7E1E03A0
	v_add_f32_e32 v15, v161, v15                               // 000000029728: 021E1FA1
	v_add_f32_e32 v15, v162, v15                               // 00000002972C: 021E1FA2
	v_add_f32_e32 v15, v163, v15                               // 000000029730: 021E1FA3
	v_add_f32_e32 v15, v164, v15                               // 000000029734: 021E1FA4
	v_add_f32_e32 v15, v165, v15                               // 000000029738: 021E1FA5
	v_add_f32_e32 v15, v166, v15                               // 00000002973C: 021E1FA6
	v_add_f32_e32 v15, v167, v15                               // 000000029740: 021E1FA7
	v_add_f32_e32 v15, v168, v15                               // 000000029744: 021E1FA8
	v_add_f32_e32 v15, v169, v15                               // 000000029748: 021E1FA9
	v_add_f32_e32 v15, v170, v15                               // 00000002974C: 021E1FAA
	v_add_f32_e32 v15, v171, v15                               // 000000029750: 021E1FAB
	v_add_f32_e32 v15, v172, v15                               // 000000029754: 021E1FAC
	v_add_f32_e32 v15, v173, v15                               // 000000029758: 021E1FAD
	v_add_f32_e32 v15, v174, v15                               // 00000002975C: 021E1FAE
	v_add_f32_e32 v15, v175, v15                               // 000000029760: 021E1FAF
	v_add_f32_e32 v41, v15, v41                                // 000000029764: 0252530F
	s_waitcnt lgkmcnt(0)                                       // 000000029768: BF8CC07F
	v_max3_f32 v48, |v64|, |v65|, v48                          // 00000002976C: D1D30330 04C28340
	v_max3_f32 v48, |v66|, |v67|, v48                          // 000000029774: D1D30330 04C28742
	v_max3_f32 v48, |v68|, |v69|, v48                          // 00000002977C: D1D30330 04C28B44
	v_max3_f32 v48, |v70|, |v71|, v48                          // 000000029784: D1D30330 04C28F46
	v_max3_f32 v48, |v72|, |v73|, v48                          // 00000002978C: D1D30330 04C29348
	v_max3_f32 v48, |v74|, |v75|, v48                          // 000000029794: D1D30330 04C2974A
	v_max3_f32 v48, |v76|, |v77|, v48                          // 00000002979C: D1D30330 04C29B4C
	v_max3_f32 v48, |v78|, |v79|, v48                          // 0000000297A4: D1D30330 04C29F4E
	s_nop 2                                                    // 0000000297AC: BF800002
	v_rcp_f32_e32 v48, v48                                     // 0000000297B0: 7E604530
	s_nop 1                                                    // 0000000297B4: BF800001
	v_mul_f32_e32 v48, 0x42fe0000, v48                         // 0000000297B8: 0A6060FF 42FE0000
	v_mul_f32_e32 v160, v48, v240                              // 0000000297C0: 0B41E130
	v_mul_f32_e32 v161, v48, v241                              // 0000000297C4: 0B43E330
	v_mul_f32_e32 v162, v48, v242                              // 0000000297C8: 0B45E530
	v_mul_f32_e32 v163, v48, v243                              // 0000000297CC: 0B47E730
	v_mul_f32_e32 v164, v48, v244                              // 0000000297D0: 0B49E930
	v_mul_f32_e32 v165, v48, v245                              // 0000000297D4: 0B4BEB30
	v_mul_f32_e32 v166, v48, v246                              // 0000000297D8: 0B4DED30
	v_mul_f32_e32 v167, v48, v247                              // 0000000297DC: 0B4FEF30
	v_mul_f32_e32 v168, v48, v248                              // 0000000297E0: 0B51F130
	v_mul_f32_e32 v169, v48, v249                              // 0000000297E4: 0B53F330
	v_mul_f32_e32 v170, v48, v250                              // 0000000297E8: 0B55F530
	v_mul_f32_e32 v171, v48, v251                              // 0000000297EC: 0B57F730
	v_mul_f32_e32 v172, v48, v252                              // 0000000297F0: 0B59F930
	v_mul_f32_e32 v173, v48, v253                              // 0000000297F4: 0B5BFB30
	v_mul_f32_e32 v174, v48, v254                              // 0000000297F8: 0B5DFD30
	v_mul_f32_e32 v175, v48, v255                              // 0000000297FC: 0B5FFF30
	v_cvt_i32_f32_e32 v160, v160                               // 000000029800: 7F4011A0
	v_cvt_i32_f32_e32 v161, v161                               // 000000029804: 7F4211A1
	v_cvt_i32_f32_e32 v162, v162                               // 000000029808: 7F4411A2
	v_cvt_i32_f32_e32 v163, v163                               // 00000002980C: 7F4611A3
	v_cvt_i32_f32_e32 v164, v164                               // 000000029810: 7F4811A4
	v_cvt_i32_f32_e32 v165, v165                               // 000000029814: 7F4A11A5
	v_cvt_i32_f32_e32 v166, v166                               // 000000029818: 7F4C11A6
	v_cvt_i32_f32_e32 v167, v167                               // 00000002981C: 7F4E11A7
	v_cvt_i32_f32_e32 v168, v168                               // 000000029820: 7F5011A8
	v_cvt_i32_f32_e32 v169, v169                               // 000000029824: 7F5211A9
	v_cvt_i32_f32_e32 v170, v170                               // 000000029828: 7F5411AA
	v_cvt_i32_f32_e32 v171, v171                               // 00000002982C: 7F5611AB
	v_cvt_i32_f32_e32 v172, v172                               // 000000029830: 7F5811AC
	v_cvt_i32_f32_e32 v173, v173                               // 000000029834: 7F5A11AD
	v_cvt_i32_f32_e32 v174, v174                               // 000000029838: 7F5C11AE
	v_cvt_i32_f32_e32 v175, v175                               // 00000002983C: 7F5E11AF
	v_perm_b32 v160, v161, v160, s53                           // 000000029840: D1ED00A0 00D741A1
	v_perm_b32 v160, v162, v160, s54                           // 000000029848: D1ED00A0 00DB41A2
	v_perm_b32 v160, v163, v160, s55                           // 000000029850: D1ED00A0 00DF41A3
	v_perm_b32 v161, v165, v164, s53                           // 000000029858: D1ED00A1 00D749A5
	v_perm_b32 v161, v166, v161, s54                           // 000000029860: D1ED00A1 00DB43A6
	v_perm_b32 v161, v167, v161, s55                           // 000000029868: D1ED00A1 00DF43A7
	v_perm_b32 v162, v169, v168, s53                           // 000000029870: D1ED00A2 00D751A9
	v_perm_b32 v162, v170, v162, s54                           // 000000029878: D1ED00A2 00DB45AA
	v_perm_b32 v162, v171, v162, s55                           // 000000029880: D1ED00A2 00DF45AB
	v_perm_b32 v163, v173, v172, s53                           // 000000029888: D1ED00A3 00D759AD
	v_perm_b32 v163, v174, v163, s54                           // 000000029890: D1ED00A3 00DB47AE
	v_perm_b32 v163, v175, v163, s55                           // 000000029898: D1ED00A3 00DF47AF
	ds_write_b32 v10, v160 offset:37376                        // 0000000298A0: D81A9200 0000A00A
	ds_write_b32 v10, v161 offset:38400                        // 0000000298A8: D81A9600 0000A10A
	ds_write_b32 v10, v162 offset:39424                        // 0000000298B0: D81A9A00 0000A20A
	ds_write_b32 v10, v163 offset:40448                        // 0000000298B8: D81A9E00 0000A30A
	v_add_f32_e32 v232, v232, v200                             // 0000000298C0: 03D191E8
	v_add_f32_e32 v233, v233, v201                             // 0000000298C4: 03D393E9
	v_add_f32_e32 v234, v234, v202                             // 0000000298C8: 03D595EA
	v_add_f32_e32 v235, v235, v203                             // 0000000298CC: 03D797EB
	v_add_f32_e32 v236, v236, v204                             // 0000000298D0: 03D999EC
	v_add_f32_e32 v237, v237, v205                             // 0000000298D4: 03DB9BED
	v_add_f32_e32 v238, v238, v206                             // 0000000298D8: 03DD9DEE
	v_add_f32_e32 v239, v239, v207                             // 0000000298DC: 03DF9FEF
	v_rcp_f32_e32 v47, v48                                     // 0000000298E0: 7E5E4530
	s_waitcnt lgkmcnt(0)                                       // 0000000298E4: BF8CC07F
	s_barrier                                                  // 0000000298E8: BF8A0000
	ds_read_b64 v[160:161], v9 offset:37376                    // 0000000298EC: D8EC9200 A0000009
	ds_read_b64 v[162:163], v9 offset:37504                    // 0000000298F4: D8EC9280 A2000009
	ds_read_b64 v[164:165], v9 offset:38400                    // 0000000298FC: D8EC9600 A4000009
	ds_read_b64 v[166:167], v9 offset:38528                    // 000000029904: D8EC9680 A6000009
	ds_read_b64 v[168:169], v9 offset:39424                    // 00000002990C: D8EC9A00 A8000009
	ds_read_b64 v[170:171], v9 offset:39552                    // 000000029914: D8EC9A80 AA000009
	ds_read_b64 v[172:173], v9 offset:40448                    // 00000002991C: D8EC9E00 AC000009
	ds_read_b64 v[174:175], v9 offset:40576                    // 000000029924: D8EC9E80 AE000009
	s_waitcnt vmcnt(0)                                         // 00000002992C: BF8C0F70
	s_barrier                                                  // 000000029930: BF8A0000
	v_mfma_i32_16x16x32_i8 v[176:179], a[96:97], v[112:113], 0 // 000000029934: D3D700B0 0A02E160
	v_mfma_i32_16x16x32_i8 v[176:179], a[98:99], v[114:115], v[176:179]// 00000002993C: D3D700B0 0EC2E562
	v_mfma_i32_16x16x32_i8 v[176:179], a[100:101], v[116:117], v[176:179]// 000000029944: D3D700B0 0EC2E964
	v_mfma_i32_16x16x32_i8 v[176:179], a[102:103], v[118:119], v[176:179]// 00000002994C: D3D700B0 0EC2ED66
	v_mfma_i32_16x16x32_i8 v[176:179], a[104:105], v[120:121], v[176:179]// 000000029954: D3D700B0 0EC2F168
	v_mfma_i32_16x16x32_i8 v[176:179], a[106:107], v[122:123], v[176:179]// 00000002995C: D3D700B0 0EC2F56A
	v_mfma_i32_16x16x32_i8 v[176:179], a[108:109], v[124:125], v[176:179]// 000000029964: D3D700B0 0EC2F96C
	v_mfma_i32_16x16x32_i8 v[176:179], a[110:111], v[126:127], v[176:179]// 00000002996C: D3D700B0 0EC2FD6E
	v_mfma_i32_16x16x32_i8 v[180:183], a[112:113], v[112:113], 0// 000000029974: D3D700B4 0A02E170
	v_mfma_i32_16x16x32_i8 v[180:183], a[114:115], v[114:115], v[180:183]// 00000002997C: D3D700B4 0ED2E572
	v_mfma_i32_16x16x32_i8 v[180:183], a[116:117], v[116:117], v[180:183]// 000000029984: D3D700B4 0ED2E974
	v_mfma_i32_16x16x32_i8 v[180:183], a[118:119], v[118:119], v[180:183]// 00000002998C: D3D700B4 0ED2ED76
	v_mfma_i32_16x16x32_i8 v[180:183], a[120:121], v[120:121], v[180:183]// 000000029994: D3D700B4 0ED2F178
	v_mfma_i32_16x16x32_i8 v[180:183], a[122:123], v[122:123], v[180:183]// 00000002999C: D3D700B4 0ED2F57A
	v_mfma_i32_16x16x32_i8 v[180:183], a[124:125], v[124:125], v[180:183]// 0000000299A4: D3D700B4 0ED2F97C
	v_mfma_i32_16x16x32_i8 v[180:183], a[126:127], v[126:127], v[180:183]// 0000000299AC: D3D700B4 0ED2FD7E
	v_mfma_i32_16x16x32_i8 v[184:187], a[96:97], v[128:129], 0 // 0000000299B4: D3D700B8 0A030160
	v_mfma_i32_16x16x32_i8 v[184:187], a[98:99], v[130:131], v[184:187]// 0000000299BC: D3D700B8 0EE30562
	v_mfma_i32_16x16x32_i8 v[184:187], a[100:101], v[132:133], v[184:187]// 0000000299C4: D3D700B8 0EE30964
	v_mfma_i32_16x16x32_i8 v[184:187], a[102:103], v[134:135], v[184:187]// 0000000299CC: D3D700B8 0EE30D66
	v_mfma_i32_16x16x32_i8 v[184:187], a[104:105], v[136:137], v[184:187]// 0000000299D4: D3D700B8 0EE31168
	v_mfma_i32_16x16x32_i8 v[184:187], a[106:107], v[138:139], v[184:187]// 0000000299DC: D3D700B8 0EE3156A
	v_mfma_i32_16x16x32_i8 v[184:187], a[108:109], v[140:141], v[184:187]// 0000000299E4: D3D700B8 0EE3196C
	v_mfma_i32_16x16x32_i8 v[184:187], a[110:111], v[142:143], v[184:187]// 0000000299EC: D3D700B8 0EE31D6E
	v_mfma_i32_16x16x32_i8 v[188:191], a[112:113], v[128:129], 0// 0000000299F4: D3D700BC 0A030170
	v_mfma_i32_16x16x32_i8 v[188:191], a[114:115], v[130:131], v[188:191]// 0000000299FC: D3D700BC 0EF30572
	v_mfma_i32_16x16x32_i8 v[188:191], a[116:117], v[132:133], v[188:191]// 000000029A04: D3D700BC 0EF30974
	v_mfma_i32_16x16x32_i8 v[188:191], a[118:119], v[134:135], v[188:191]// 000000029A0C: D3D700BC 0EF30D76
	v_mfma_i32_16x16x32_i8 v[188:191], a[120:121], v[136:137], v[188:191]// 000000029A14: D3D700BC 0EF31178
	v_mfma_i32_16x16x32_i8 v[188:191], a[122:123], v[138:139], v[188:191]// 000000029A1C: D3D700BC 0EF3157A
	v_mfma_i32_16x16x32_i8 v[188:191], a[124:125], v[140:141], v[188:191]// 000000029A24: D3D700BC 0EF3197C
	v_mfma_i32_16x16x32_i8 v[188:191], a[126:127], v[142:143], v[188:191]// 000000029A2C: D3D700BC 0EF31D7E
	v_mfma_i32_16x16x32_i8 v[192:195], a[96:97], v[144:145], 0 // 000000029A34: D3D700C0 0A032160
	v_mfma_i32_16x16x32_i8 v[192:195], a[98:99], v[146:147], v[192:195]// 000000029A3C: D3D700C0 0F032562
	v_mfma_i32_16x16x32_i8 v[192:195], a[100:101], v[148:149], v[192:195]// 000000029A44: D3D700C0 0F032964
	v_mfma_i32_16x16x32_i8 v[192:195], a[102:103], v[150:151], v[192:195]// 000000029A4C: D3D700C0 0F032D66
	v_mfma_i32_16x16x32_i8 v[192:195], a[104:105], v[152:153], v[192:195]// 000000029A54: D3D700C0 0F033168
	v_mfma_i32_16x16x32_i8 v[192:195], a[106:107], v[154:155], v[192:195]// 000000029A5C: D3D700C0 0F03356A
	v_mfma_i32_16x16x32_i8 v[192:195], a[108:109], v[156:157], v[192:195]// 000000029A64: D3D700C0 0F03396C
	v_mfma_i32_16x16x32_i8 v[192:195], a[110:111], v[158:159], v[192:195]// 000000029A6C: D3D700C0 0F033D6E
	v_mfma_i32_16x16x32_i8 v[196:199], a[112:113], v[144:145], 0// 000000029A74: D3D700C4 0A032170
	v_mfma_i32_16x16x32_i8 v[196:199], a[114:115], v[146:147], v[196:199]// 000000029A7C: D3D700C4 0F132572
	v_mfma_i32_16x16x32_i8 v[196:199], a[116:117], v[148:149], v[196:199]// 000000029A84: D3D700C4 0F132974
	v_mfma_i32_16x16x32_i8 v[196:199], a[118:119], v[150:151], v[196:199]// 000000029A8C: D3D700C4 0F132D76
	v_mfma_i32_16x16x32_i8 v[196:199], a[120:121], v[152:153], v[196:199]// 000000029A94: D3D700C4 0F133178
	v_mfma_i32_16x16x32_i8 v[196:199], a[122:123], v[154:155], v[196:199]// 000000029A9C: D3D700C4 0F13357A
	v_mfma_i32_16x16x32_i8 v[196:199], a[124:125], v[156:157], v[196:199]// 000000029AA4: D3D700C4 0F13397C
	v_mfma_i32_16x16x32_i8 v[196:199], a[126:127], v[158:159], v[196:199]// 000000029AAC: D3D700C4 0F133D7E
	v_mfma_i32_16x16x32_i8 v[200:203], a[96:97], v[160:161], 0 // 000000029AB4: D3D700C8 0A034160
	v_mfma_i32_16x16x32_i8 v[200:203], a[98:99], v[162:163], v[200:203]// 000000029ABC: D3D700C8 0F234562
	v_mfma_i32_16x16x32_i8 v[200:203], a[100:101], v[164:165], v[200:203]// 000000029AC4: D3D700C8 0F234964
	v_mfma_i32_16x16x32_i8 v[200:203], a[102:103], v[166:167], v[200:203]// 000000029ACC: D3D700C8 0F234D66
	v_mfma_i32_16x16x32_i8 v[200:203], a[104:105], v[168:169], v[200:203]// 000000029AD4: D3D700C8 0F235168
	v_mfma_i32_16x16x32_i8 v[200:203], a[106:107], v[170:171], v[200:203]// 000000029ADC: D3D700C8 0F23556A
	v_mfma_i32_16x16x32_i8 v[200:203], a[108:109], v[172:173], v[200:203]// 000000029AE4: D3D700C8 0F23596C
	v_mfma_i32_16x16x32_i8 v[200:203], a[110:111], v[174:175], v[200:203]// 000000029AEC: D3D700C8 0F235D6E
	v_mfma_i32_16x16x32_i8 v[204:207], a[112:113], v[160:161], 0// 000000029AF4: D3D700CC 0A034170
	v_mfma_i32_16x16x32_i8 v[204:207], a[114:115], v[162:163], v[204:207]// 000000029AFC: D3D700CC 0F334572
	v_mfma_i32_16x16x32_i8 v[204:207], a[116:117], v[164:165], v[204:207]// 000000029B04: D3D700CC 0F334974
	v_mfma_i32_16x16x32_i8 v[204:207], a[118:119], v[166:167], v[204:207]// 000000029B0C: D3D700CC 0F334D76
	v_mfma_i32_16x16x32_i8 v[204:207], a[120:121], v[168:169], v[204:207]// 000000029B14: D3D700CC 0F335178
	v_mfma_i32_16x16x32_i8 v[204:207], a[122:123], v[170:171], v[204:207]// 000000029B1C: D3D700CC 0F33557A
	v_mfma_i32_16x16x32_i8 v[204:207], a[124:125], v[172:173], v[204:207]// 000000029B24: D3D700CC 0F33597C
	v_mfma_i32_16x16x32_i8 v[204:207], a[126:127], v[174:175], v[204:207]// 000000029B2C: D3D700CC 0F335D7E
	s_nop 4                                                    // 000000029B34: BF800004
	s_branch label_9E4F                                        // 000000029B38: BF820000

0000000000029b3c <label_9E4F>:
	v_mul_f32_e32 v208, v49, v208                              // 000000029B3C: 0BA1A131
	v_mul_f32_e32 v209, v49, v209                              // 000000029B40: 0BA3A331
	v_mul_f32_e32 v210, v49, v210                              // 000000029B44: 0BA5A531
	v_mul_f32_e32 v211, v49, v211                              // 000000029B48: 0BA7A731
	v_mul_f32_e32 v212, v49, v212                              // 000000029B4C: 0BA9A931
	v_mul_f32_e32 v213, v49, v213                              // 000000029B50: 0BABAB31
	v_mul_f32_e32 v214, v49, v214                              // 000000029B54: 0BADAD31
	v_mul_f32_e32 v215, v49, v215                              // 000000029B58: 0BAFAF31
	v_cvt_f32_i32_e32 v176, v176                               // 000000029B5C: 7F600BB0
	v_cvt_f32_i32_e32 v177, v177                               // 000000029B60: 7F620BB1
	v_cvt_f32_i32_e32 v178, v178                               // 000000029B64: 7F640BB2
	v_cvt_f32_i32_e32 v179, v179                               // 000000029B68: 7F660BB3
	v_cvt_f32_i32_e32 v180, v180                               // 000000029B6C: 7F680BB4
	v_cvt_f32_i32_e32 v181, v181                               // 000000029B70: 7F6A0BB5
	v_cvt_f32_i32_e32 v182, v182                               // 000000029B74: 7F6C0BB6
	v_cvt_f32_i32_e32 v183, v183                               // 000000029B78: 7F6E0BB7
	v_mul_f32_e32 v176, v44, v176                              // 000000029B7C: 0B61612C
	v_mul_f32_e32 v177, v44, v177                              // 000000029B80: 0B63632C
	v_mul_f32_e32 v178, v44, v178                              // 000000029B84: 0B65652C
	v_mul_f32_e32 v179, v44, v179                              // 000000029B88: 0B67672C
	v_mul_f32_e32 v180, v44, v180                              // 000000029B8C: 0B69692C
	v_mul_f32_e32 v181, v44, v181                              // 000000029B90: 0B6B6B2C
	v_mul_f32_e32 v182, v44, v182                              // 000000029B94: 0B6D6D2C
	v_mul_f32_e32 v183, v44, v183                              // 000000029B98: 0B6F6F2C
	v_add_f32_e32 v208, v208, v176                             // 000000029B9C: 03A161D0
	v_add_f32_e32 v209, v209, v177                             // 000000029BA0: 03A363D1
	v_add_f32_e32 v210, v210, v178                             // 000000029BA4: 03A565D2
	v_add_f32_e32 v211, v211, v179                             // 000000029BA8: 03A767D3
	v_add_f32_e32 v212, v212, v180                             // 000000029BAC: 03A969D4
	v_add_f32_e32 v213, v213, v181                             // 000000029BB0: 03AB6BD5
	v_add_f32_e32 v214, v214, v182                             // 000000029BB4: 03AD6DD6
	v_add_f32_e32 v215, v215, v183                             // 000000029BB8: 03AF6FD7
	ds_write_b32 v8, v38 offset:16896                          // 000000029BBC: D81A4200 00002608
	s_waitcnt lgkmcnt(0)                                       // 000000029BC4: BF8CC07F
	s_barrier                                                  // 000000029BC8: BF8A0000
	ds_read_b32 v64, v7 offset:16896                           // 000000029BCC: D86C4200 40000007
	ds_read_b32 v65, v7 offset:16960                           // 000000029BD4: D86C4240 41000007
	ds_read_b32 v66, v7 offset:17024                           // 000000029BDC: D86C4280 42000007
	ds_read_b32 v67, v7 offset:17088                           // 000000029BE4: D86C42C0 43000007
	ds_read_b32 v68, v7 offset:17152                           // 000000029BEC: D86C4300 44000007
	ds_read_b32 v69, v7 offset:17216                           // 000000029BF4: D86C4340 45000007
	ds_read_b32 v70, v7 offset:17280                           // 000000029BFC: D86C4380 46000007
	ds_read_b32 v71, v7 offset:17344                           // 000000029C04: D86C43C0 47000007
	ds_read_b32 v72, v7 offset:17408                           // 000000029C0C: D86C4400 48000007
	ds_read_b32 v73, v7 offset:17472                           // 000000029C14: D86C4440 49000007
	ds_read_b32 v74, v7 offset:17536                           // 000000029C1C: D86C4480 4A000007
	ds_read_b32 v75, v7 offset:17600                           // 000000029C24: D86C44C0 4B000007
	ds_read_b32 v76, v7 offset:17664                           // 000000029C2C: D86C4500 4C000007
	ds_read_b32 v77, v7 offset:17728                           // 000000029C34: D86C4540 4D000007
	ds_read_b32 v78, v7 offset:17792                           // 000000029C3C: D86C4580 4E000007
	ds_read_b32 v79, v7 offset:17856                           // 000000029C44: D86C45C0 4F000007
	s_waitcnt lgkmcnt(0)                                       // 000000029C4C: BF8CC07F
	v_mov_b32_e32 v38, 0                                       // 000000029C50: 7E4C0280
	v_add_f32_e32 v38, v64, v38                                // 000000029C54: 024C4D40
	v_add_f32_e32 v38, v65, v38                                // 000000029C58: 024C4D41
	v_add_f32_e32 v38, v66, v38                                // 000000029C5C: 024C4D42
	v_add_f32_e32 v38, v67, v38                                // 000000029C60: 024C4D43
	v_add_f32_e32 v38, v68, v38                                // 000000029C64: 024C4D44
	v_add_f32_e32 v38, v69, v38                                // 000000029C68: 024C4D45
	v_add_f32_e32 v38, v70, v38                                // 000000029C6C: 024C4D46
	v_add_f32_e32 v38, v71, v38                                // 000000029C70: 024C4D47
	v_add_f32_e32 v38, v72, v38                                // 000000029C74: 024C4D48
	v_add_f32_e32 v38, v73, v38                                // 000000029C78: 024C4D49
	v_add_f32_e32 v38, v74, v38                                // 000000029C7C: 024C4D4A
	v_add_f32_e32 v38, v75, v38                                // 000000029C80: 024C4D4B
	v_add_f32_e32 v38, v76, v38                                // 000000029C84: 024C4D4C
	v_add_f32_e32 v38, v77, v38                                // 000000029C88: 024C4D4D
	v_add_f32_e32 v38, v78, v38                                // 000000029C8C: 024C4D4E
	v_add_f32_e32 v38, v79, v38                                // 000000029C90: 024C4D4F
	s_nop 1                                                    // 000000029C94: BF800001
	v_rcp_f32_e32 v38, v38                                     // 000000029C98: 7E4C4526
	s_nop 1                                                    // 000000029C9C: BF800001
	v_mul_f32_e32 v208, v38, v208                              // 000000029CA0: 0BA1A126
	v_mul_f32_e32 v209, v38, v209                              // 000000029CA4: 0BA3A326
	v_mul_f32_e32 v210, v38, v210                              // 000000029CA8: 0BA5A526
	v_mul_f32_e32 v211, v38, v211                              // 000000029CAC: 0BA7A726
	v_mul_f32_e32 v212, v38, v212                              // 000000029CB0: 0BA9A926
	v_mul_f32_e32 v213, v38, v213                              // 000000029CB4: 0BABAB26
	v_mul_f32_e32 v214, v38, v214                              // 000000029CB8: 0BADAD26
	v_mul_f32_e32 v215, v38, v215                              // 000000029CBC: 0BAFAF26
	v_mov_b32_e32 v19, 0xffff0000                              // 000000029CC0: 7E2602FF FFFF0000
	v_mov_b32_e32 v20, 0x7fff0000                              // 000000029CC8: 7E2802FF 7FFF0000
	v_mov_b32_e32 v21, 0x7fff                                  // 000000029CD0: 7E2A02FF 00007FFF
	v_cvt_pkrtz_f16_f32 v64, v208, v209                        // 000000029CD8: D2960040 0003A3D0
	v_mov_b32_e32 v208, v64                                    // 000000029CE0: 7FA00340
	v_cvt_pkrtz_f16_f32 v64, v210, v211                        // 000000029CE4: D2960040 0003A7D2
	v_mov_b32_e32 v209, v64                                    // 000000029CEC: 7FA20340
	v_cvt_pkrtz_f16_f32 v64, v212, v213                        // 000000029CF0: D2960040 0003ABD4
	v_mov_b32_e32 v210, v64                                    // 000000029CF8: 7FA40340
	v_cvt_pkrtz_f16_f32 v64, v214, v215                        // 000000029CFC: D2960040 0003AFD6
	v_mov_b32_e32 v211, v64                                    // 000000029D04: 7FA60340
	s_nop 1                                                    // 000000029D08: BF800001
	v_lshrrev_b32_e32 v64, 4, v0                               // 000000029D0C: 20800084
	v_mul_i32_i24_e32 v68, 34, v64                             // 000000029D10: 0C8880A2
	v_and_b32_e32 v64, 15, v0                                  // 000000029D14: 2680008F
	v_mul_i32_i24_e32 v65, 2, v64                              // 000000029D18: 0C828082
	v_add_u32_e32 v68, v65, v68                                // 000000029D1C: 68888941
	s_mul_i32 s60, s7, 0x88                                    // 000000029D20: 923CFF07 00000088
	v_add_u32_e32 v68, s60, v68                                // 000000029D28: 6888883C
	v_lshlrev_b32_e32 v68, 2, v68                              // 000000029D2C: 24888882
	ds_write_b64 v68, v[208:209] offset:41472                  // 000000029D30: D89AA200 0000D044
	ds_write_b64 v68, v[210:211] offset:43648                  // 000000029D38: D89AAA80 0000D244
	v_lshrrev_b32_e32 v64, 1, v0                               // 000000029D40: 20800081
	v_mul_i32_i24_e32 v68, 34, v64                             // 000000029D44: 0C8880A2
	v_and_b32_e32 v65, 1, v0                                   // 000000029D48: 26820081
	v_add_u32_e32 v68, v65, v68                                // 000000029D4C: 68888941
	s_mul_i32 s60, s7, 2                                       // 000000029D50: 923C8207
	v_add_u32_e32 v68, s60, v68                                // 000000029D54: 6888883C
	v_lshlrev_b32_e32 v68, 2, v68                              // 000000029D58: 24888882
	s_waitcnt lgkmcnt(0)                                       // 000000029D5C: BF8CC07F
	s_barrier                                                  // 000000029D60: BF8A0000
	ds_read_b32 v208, v68 offset:41472                         // 000000029D64: D86CA200 D0000044
	ds_read_b32 v209, v68 offset:41504                         // 000000029D6C: D86CA220 D1000044
	ds_read_b32 v210, v68 offset:41536                         // 000000029D74: D86CA240 D2000044
	ds_read_b32 v211, v68 offset:41568                         // 000000029D7C: D86CA260 D3000044
	s_mul_i32 s60, s7, 0x100                                   // 000000029D84: 923CFF07 00000100
	v_lshlrev_b32_e32 v64, 2, v0                               // 000000029D8C: 24800082
	v_add_u32_e64 v64, v64, s60                                // 000000029D90: D1340040 00007940
	s_waitcnt lgkmcnt(0)                                       // 000000029D98: BF8CC07F
	buffer_store_dword v208, v64, s[8:11], 0 offen             // 000000029D9C: E0701000 8002D040
	buffer_store_dword v209, v64, s[8:11], 0 offen offset:1024 // 000000029DA4: E0701400 8002D140
	buffer_store_dword v210, v64, s[8:11], 0 offen offset:2048 // 000000029DAC: E0701800 8002D240
	buffer_store_dword v211, v64, s[8:11], 0 offen offset:3072 // 000000029DB4: E0701C00 8002D340
	s_add_u32 s8, s75, s8                                      // 000000029DBC: 8008084B
	s_addc_u32 s9, 0, s9                                       // 000000029DC0: 82090980
	v_mul_f32_e32 v216, v50, v216                              // 000000029DC4: 0BB1B132
	v_mul_f32_e32 v217, v50, v217                              // 000000029DC8: 0BB3B332
	v_mul_f32_e32 v218, v50, v218                              // 000000029DCC: 0BB5B532
	v_mul_f32_e32 v219, v50, v219                              // 000000029DD0: 0BB7B732
	v_mul_f32_e32 v220, v50, v220                              // 000000029DD4: 0BB9B932
	v_mul_f32_e32 v221, v50, v221                              // 000000029DD8: 0BBBBB32
	v_mul_f32_e32 v222, v50, v222                              // 000000029DDC: 0BBDBD32
	v_mul_f32_e32 v223, v50, v223                              // 000000029DE0: 0BBFBF32
	v_cvt_f32_i32_e32 v184, v184                               // 000000029DE4: 7F700BB8
	v_cvt_f32_i32_e32 v185, v185                               // 000000029DE8: 7F720BB9
	v_cvt_f32_i32_e32 v186, v186                               // 000000029DEC: 7F740BBA
	v_cvt_f32_i32_e32 v187, v187                               // 000000029DF0: 7F760BBB
	v_cvt_f32_i32_e32 v188, v188                               // 000000029DF4: 7F780BBC
	v_cvt_f32_i32_e32 v189, v189                               // 000000029DF8: 7F7A0BBD
	v_cvt_f32_i32_e32 v190, v190                               // 000000029DFC: 7F7C0BBE
	v_cvt_f32_i32_e32 v191, v191                               // 000000029E00: 7F7E0BBF
	v_mul_f32_e32 v184, v45, v184                              // 000000029E04: 0B71712D
	v_mul_f32_e32 v185, v45, v185                              // 000000029E08: 0B73732D
	v_mul_f32_e32 v186, v45, v186                              // 000000029E0C: 0B75752D
	v_mul_f32_e32 v187, v45, v187                              // 000000029E10: 0B77772D
	v_mul_f32_e32 v188, v45, v188                              // 000000029E14: 0B79792D
	v_mul_f32_e32 v189, v45, v189                              // 000000029E18: 0B7B7B2D
	v_mul_f32_e32 v190, v45, v190                              // 000000029E1C: 0B7D7D2D
	v_mul_f32_e32 v191, v45, v191                              // 000000029E20: 0B7F7F2D
	v_add_f32_e32 v216, v216, v184                             // 000000029E24: 03B171D8
	v_add_f32_e32 v217, v217, v185                             // 000000029E28: 03B373D9
	v_add_f32_e32 v218, v218, v186                             // 000000029E2C: 03B575DA
	v_add_f32_e32 v219, v219, v187                             // 000000029E30: 03B777DB
	v_add_f32_e32 v220, v220, v188                             // 000000029E34: 03B979DC
	v_add_f32_e32 v221, v221, v189                             // 000000029E38: 03BB7BDD
	v_add_f32_e32 v222, v222, v190                             // 000000029E3C: 03BD7DDE
	v_add_f32_e32 v223, v223, v191                             // 000000029E40: 03BF7FDF
	ds_write_b32 v8, v39 offset:16896                          // 000000029E44: D81A4200 00002708
	s_waitcnt lgkmcnt(0)                                       // 000000029E4C: BF8CC07F
	s_barrier                                                  // 000000029E50: BF8A0000
	ds_read_b32 v64, v7 offset:16896                           // 000000029E54: D86C4200 40000007
	ds_read_b32 v65, v7 offset:16960                           // 000000029E5C: D86C4240 41000007
	ds_read_b32 v66, v7 offset:17024                           // 000000029E64: D86C4280 42000007
	ds_read_b32 v67, v7 offset:17088                           // 000000029E6C: D86C42C0 43000007
	ds_read_b32 v68, v7 offset:17152                           // 000000029E74: D86C4300 44000007
	ds_read_b32 v69, v7 offset:17216                           // 000000029E7C: D86C4340 45000007
	ds_read_b32 v70, v7 offset:17280                           // 000000029E84: D86C4380 46000007
	ds_read_b32 v71, v7 offset:17344                           // 000000029E8C: D86C43C0 47000007
	ds_read_b32 v72, v7 offset:17408                           // 000000029E94: D86C4400 48000007
	ds_read_b32 v73, v7 offset:17472                           // 000000029E9C: D86C4440 49000007
	ds_read_b32 v74, v7 offset:17536                           // 000000029EA4: D86C4480 4A000007
	ds_read_b32 v75, v7 offset:17600                           // 000000029EAC: D86C44C0 4B000007
	ds_read_b32 v76, v7 offset:17664                           // 000000029EB4: D86C4500 4C000007
	ds_read_b32 v77, v7 offset:17728                           // 000000029EBC: D86C4540 4D000007
	ds_read_b32 v78, v7 offset:17792                           // 000000029EC4: D86C4580 4E000007
	ds_read_b32 v79, v7 offset:17856                           // 000000029ECC: D86C45C0 4F000007
	s_waitcnt lgkmcnt(0)                                       // 000000029ED4: BF8CC07F
	v_mov_b32_e32 v39, 0                                       // 000000029ED8: 7E4E0280
	v_add_f32_e32 v39, v64, v39                                // 000000029EDC: 024E4F40
	v_add_f32_e32 v39, v65, v39                                // 000000029EE0: 024E4F41
	v_add_f32_e32 v39, v66, v39                                // 000000029EE4: 024E4F42
	v_add_f32_e32 v39, v67, v39                                // 000000029EE8: 024E4F43
	v_add_f32_e32 v39, v68, v39                                // 000000029EEC: 024E4F44
	v_add_f32_e32 v39, v69, v39                                // 000000029EF0: 024E4F45
	v_add_f32_e32 v39, v70, v39                                // 000000029EF4: 024E4F46
	v_add_f32_e32 v39, v71, v39                                // 000000029EF8: 024E4F47
	v_add_f32_e32 v39, v72, v39                                // 000000029EFC: 024E4F48
	v_add_f32_e32 v39, v73, v39                                // 000000029F00: 024E4F49
	v_add_f32_e32 v39, v74, v39                                // 000000029F04: 024E4F4A
	v_add_f32_e32 v39, v75, v39                                // 000000029F08: 024E4F4B
	v_add_f32_e32 v39, v76, v39                                // 000000029F0C: 024E4F4C
	v_add_f32_e32 v39, v77, v39                                // 000000029F10: 024E4F4D
	v_add_f32_e32 v39, v78, v39                                // 000000029F14: 024E4F4E
	v_add_f32_e32 v39, v79, v39                                // 000000029F18: 024E4F4F
	s_nop 1                                                    // 000000029F1C: BF800001
	v_rcp_f32_e32 v39, v39                                     // 000000029F20: 7E4E4527
	s_nop 1                                                    // 000000029F24: BF800001
	v_mul_f32_e32 v216, v39, v216                              // 000000029F28: 0BB1B127
	v_mul_f32_e32 v217, v39, v217                              // 000000029F2C: 0BB3B327
	v_mul_f32_e32 v218, v39, v218                              // 000000029F30: 0BB5B527
	v_mul_f32_e32 v219, v39, v219                              // 000000029F34: 0BB7B727
	v_mul_f32_e32 v220, v39, v220                              // 000000029F38: 0BB9B927
	v_mul_f32_e32 v221, v39, v221                              // 000000029F3C: 0BBBBB27
	v_mul_f32_e32 v222, v39, v222                              // 000000029F40: 0BBDBD27
	v_mul_f32_e32 v223, v39, v223                              // 000000029F44: 0BBFBF27
	v_mov_b32_e32 v19, 0xffff0000                              // 000000029F48: 7E2602FF FFFF0000
	v_mov_b32_e32 v20, 0x7fff0000                              // 000000029F50: 7E2802FF 7FFF0000
	v_mov_b32_e32 v21, 0x7fff                                  // 000000029F58: 7E2A02FF 00007FFF
	v_cvt_pkrtz_f16_f32 v64, v216, v217                        // 000000029F60: D2960040 0003B3D8
	v_mov_b32_e32 v216, v64                                    // 000000029F68: 7FB00340
	v_cvt_pkrtz_f16_f32 v64, v218, v219                        // 000000029F6C: D2960040 0003B7DA
	v_mov_b32_e32 v217, v64                                    // 000000029F74: 7FB20340
	v_cvt_pkrtz_f16_f32 v64, v220, v221                        // 000000029F78: D2960040 0003BBDC
	v_mov_b32_e32 v218, v64                                    // 000000029F80: 7FB40340
	v_cvt_pkrtz_f16_f32 v64, v222, v223                        // 000000029F84: D2960040 0003BFDE
	v_mov_b32_e32 v219, v64                                    // 000000029F8C: 7FB60340
	s_nop 1                                                    // 000000029F90: BF800001
	v_lshrrev_b32_e32 v64, 4, v0                               // 000000029F94: 20800084
	v_mul_i32_i24_e32 v68, 34, v64                             // 000000029F98: 0C8880A2
	v_and_b32_e32 v64, 15, v0                                  // 000000029F9C: 2680008F
	v_mul_i32_i24_e32 v65, 2, v64                              // 000000029FA0: 0C828082
	v_add_u32_e32 v68, v65, v68                                // 000000029FA4: 68888941
	s_mul_i32 s60, s7, 0x88                                    // 000000029FA8: 923CFF07 00000088
	v_add_u32_e32 v68, s60, v68                                // 000000029FB0: 6888883C
	v_lshlrev_b32_e32 v68, 2, v68                              // 000000029FB4: 24888882
	ds_write_b64 v68, v[216:217] offset:41472                  // 000000029FB8: D89AA200 0000D844
	ds_write_b64 v68, v[218:219] offset:43648                  // 000000029FC0: D89AAA80 0000DA44
	v_lshrrev_b32_e32 v64, 1, v0                               // 000000029FC8: 20800081
	v_mul_i32_i24_e32 v68, 34, v64                             // 000000029FCC: 0C8880A2
	v_and_b32_e32 v65, 1, v0                                   // 000000029FD0: 26820081
	v_add_u32_e32 v68, v65, v68                                // 000000029FD4: 68888941
	s_mul_i32 s60, s7, 2                                       // 000000029FD8: 923C8207
	v_add_u32_e32 v68, s60, v68                                // 000000029FDC: 6888883C
	v_lshlrev_b32_e32 v68, 2, v68                              // 000000029FE0: 24888882
	s_waitcnt lgkmcnt(0)                                       // 000000029FE4: BF8CC07F
	s_barrier                                                  // 000000029FE8: BF8A0000
	ds_read_b32 v216, v68 offset:41472                         // 000000029FEC: D86CA200 D8000044
	ds_read_b32 v217, v68 offset:41504                         // 000000029FF4: D86CA220 D9000044
	ds_read_b32 v218, v68 offset:41536                         // 000000029FFC: D86CA240 DA000044
	ds_read_b32 v219, v68 offset:41568                         // 00000002A004: D86CA260 DB000044
	s_mul_i32 s60, s7, 0x100                                   // 00000002A00C: 923CFF07 00000100
	v_lshlrev_b32_e32 v64, 2, v0                               // 00000002A014: 24800082
	v_add_u32_e64 v64, v64, s60                                // 00000002A018: D1340040 00007940
	s_waitcnt lgkmcnt(0)                                       // 00000002A020: BF8CC07F
	buffer_store_dword v216, v64, s[8:11], 0 offen             // 00000002A024: E0701000 8002D840
	buffer_store_dword v217, v64, s[8:11], 0 offen offset:1024 // 00000002A02C: E0701400 8002D940
	buffer_store_dword v218, v64, s[8:11], 0 offen offset:2048 // 00000002A034: E0701800 8002DA40
	buffer_store_dword v219, v64, s[8:11], 0 offen offset:3072 // 00000002A03C: E0701C00 8002DB40
	s_add_u32 s8, s75, s8                                      // 00000002A044: 8008084B
	s_addc_u32 s9, 0, s9                                       // 00000002A048: 82090980
	v_mul_f32_e32 v224, v51, v224                              // 00000002A04C: 0BC1C133
	v_mul_f32_e32 v225, v51, v225                              // 00000002A050: 0BC3C333
	v_mul_f32_e32 v226, v51, v226                              // 00000002A054: 0BC5C533
	v_mul_f32_e32 v227, v51, v227                              // 00000002A058: 0BC7C733
	v_mul_f32_e32 v228, v51, v228                              // 00000002A05C: 0BC9C933
	v_mul_f32_e32 v229, v51, v229                              // 00000002A060: 0BCBCB33
	v_mul_f32_e32 v230, v51, v230                              // 00000002A064: 0BCDCD33
	v_mul_f32_e32 v231, v51, v231                              // 00000002A068: 0BCFCF33
	v_cvt_f32_i32_e32 v192, v192                               // 00000002A06C: 7F800BC0
	v_cvt_f32_i32_e32 v193, v193                               // 00000002A070: 7F820BC1
	v_cvt_f32_i32_e32 v194, v194                               // 00000002A074: 7F840BC2
	v_cvt_f32_i32_e32 v195, v195                               // 00000002A078: 7F860BC3
	v_cvt_f32_i32_e32 v196, v196                               // 00000002A07C: 7F880BC4
	v_cvt_f32_i32_e32 v197, v197                               // 00000002A080: 7F8A0BC5
	v_cvt_f32_i32_e32 v198, v198                               // 00000002A084: 7F8C0BC6
	v_cvt_f32_i32_e32 v199, v199                               // 00000002A088: 7F8E0BC7
	v_mul_f32_e32 v192, v46, v192                              // 00000002A08C: 0B81812E
	v_mul_f32_e32 v193, v46, v193                              // 00000002A090: 0B83832E
	v_mul_f32_e32 v194, v46, v194                              // 00000002A094: 0B85852E
	v_mul_f32_e32 v195, v46, v195                              // 00000002A098: 0B87872E
	v_mul_f32_e32 v196, v46, v196                              // 00000002A09C: 0B89892E
	v_mul_f32_e32 v197, v46, v197                              // 00000002A0A0: 0B8B8B2E
	v_mul_f32_e32 v198, v46, v198                              // 00000002A0A4: 0B8D8D2E
	v_mul_f32_e32 v199, v46, v199                              // 00000002A0A8: 0B8F8F2E
	v_add_f32_e32 v224, v224, v192                             // 00000002A0AC: 03C181E0
	v_add_f32_e32 v225, v225, v193                             // 00000002A0B0: 03C383E1
	v_add_f32_e32 v226, v226, v194                             // 00000002A0B4: 03C585E2
	v_add_f32_e32 v227, v227, v195                             // 00000002A0B8: 03C787E3
	v_add_f32_e32 v228, v228, v196                             // 00000002A0BC: 03C989E4
	v_add_f32_e32 v229, v229, v197                             // 00000002A0C0: 03CB8BE5
	v_add_f32_e32 v230, v230, v198                             // 00000002A0C4: 03CD8DE6
	v_add_f32_e32 v231, v231, v199                             // 00000002A0C8: 03CF8FE7
	ds_write_b32 v8, v40 offset:16896                          // 00000002A0CC: D81A4200 00002808
	s_waitcnt lgkmcnt(0)                                       // 00000002A0D4: BF8CC07F
	s_barrier                                                  // 00000002A0D8: BF8A0000
	ds_read_b32 v64, v7 offset:16896                           // 00000002A0DC: D86C4200 40000007
	ds_read_b32 v65, v7 offset:16960                           // 00000002A0E4: D86C4240 41000007
	ds_read_b32 v66, v7 offset:17024                           // 00000002A0EC: D86C4280 42000007
	ds_read_b32 v67, v7 offset:17088                           // 00000002A0F4: D86C42C0 43000007
	ds_read_b32 v68, v7 offset:17152                           // 00000002A0FC: D86C4300 44000007
	ds_read_b32 v69, v7 offset:17216                           // 00000002A104: D86C4340 45000007
	ds_read_b32 v70, v7 offset:17280                           // 00000002A10C: D86C4380 46000007
	ds_read_b32 v71, v7 offset:17344                           // 00000002A114: D86C43C0 47000007
	ds_read_b32 v72, v7 offset:17408                           // 00000002A11C: D86C4400 48000007
	ds_read_b32 v73, v7 offset:17472                           // 00000002A124: D86C4440 49000007
	ds_read_b32 v74, v7 offset:17536                           // 00000002A12C: D86C4480 4A000007
	ds_read_b32 v75, v7 offset:17600                           // 00000002A134: D86C44C0 4B000007
	ds_read_b32 v76, v7 offset:17664                           // 00000002A13C: D86C4500 4C000007
	ds_read_b32 v77, v7 offset:17728                           // 00000002A144: D86C4540 4D000007
	ds_read_b32 v78, v7 offset:17792                           // 00000002A14C: D86C4580 4E000007
	ds_read_b32 v79, v7 offset:17856                           // 00000002A154: D86C45C0 4F000007
	s_waitcnt lgkmcnt(0)                                       // 00000002A15C: BF8CC07F
	v_mov_b32_e32 v40, 0                                       // 00000002A160: 7E500280
	v_add_f32_e32 v40, v64, v40                                // 00000002A164: 02505140
	v_add_f32_e32 v40, v65, v40                                // 00000002A168: 02505141
	v_add_f32_e32 v40, v66, v40                                // 00000002A16C: 02505142
	v_add_f32_e32 v40, v67, v40                                // 00000002A170: 02505143
	v_add_f32_e32 v40, v68, v40                                // 00000002A174: 02505144
	v_add_f32_e32 v40, v69, v40                                // 00000002A178: 02505145
	v_add_f32_e32 v40, v70, v40                                // 00000002A17C: 02505146
	v_add_f32_e32 v40, v71, v40                                // 00000002A180: 02505147
	v_add_f32_e32 v40, v72, v40                                // 00000002A184: 02505148
	v_add_f32_e32 v40, v73, v40                                // 00000002A188: 02505149
	v_add_f32_e32 v40, v74, v40                                // 00000002A18C: 0250514A
	v_add_f32_e32 v40, v75, v40                                // 00000002A190: 0250514B
	v_add_f32_e32 v40, v76, v40                                // 00000002A194: 0250514C
	v_add_f32_e32 v40, v77, v40                                // 00000002A198: 0250514D
	v_add_f32_e32 v40, v78, v40                                // 00000002A19C: 0250514E
	v_add_f32_e32 v40, v79, v40                                // 00000002A1A0: 0250514F
	s_nop 1                                                    // 00000002A1A4: BF800001
	v_rcp_f32_e32 v40, v40                                     // 00000002A1A8: 7E504528
	s_nop 1                                                    // 00000002A1AC: BF800001
	v_mul_f32_e32 v224, v40, v224                              // 00000002A1B0: 0BC1C128
	v_mul_f32_e32 v225, v40, v225                              // 00000002A1B4: 0BC3C328
	v_mul_f32_e32 v226, v40, v226                              // 00000002A1B8: 0BC5C528
	v_mul_f32_e32 v227, v40, v227                              // 00000002A1BC: 0BC7C728
	v_mul_f32_e32 v228, v40, v228                              // 00000002A1C0: 0BC9C928
	v_mul_f32_e32 v229, v40, v229                              // 00000002A1C4: 0BCBCB28
	v_mul_f32_e32 v230, v40, v230                              // 00000002A1C8: 0BCDCD28
	v_mul_f32_e32 v231, v40, v231                              // 00000002A1CC: 0BCFCF28
	v_mov_b32_e32 v19, 0xffff0000                              // 00000002A1D0: 7E2602FF FFFF0000
	v_mov_b32_e32 v20, 0x7fff0000                              // 00000002A1D8: 7E2802FF 7FFF0000
	v_mov_b32_e32 v21, 0x7fff                                  // 00000002A1E0: 7E2A02FF 00007FFF
	v_cvt_pkrtz_f16_f32 v64, v224, v225                        // 00000002A1E8: D2960040 0003C3E0
	v_mov_b32_e32 v224, v64                                    // 00000002A1F0: 7FC00340
	v_cvt_pkrtz_f16_f32 v64, v226, v227                        // 00000002A1F4: D2960040 0003C7E2
	v_mov_b32_e32 v225, v64                                    // 00000002A1FC: 7FC20340
	v_cvt_pkrtz_f16_f32 v64, v228, v229                        // 00000002A200: D2960040 0003CBE4
	v_mov_b32_e32 v226, v64                                    // 00000002A208: 7FC40340
	v_cvt_pkrtz_f16_f32 v64, v230, v231                        // 00000002A20C: D2960040 0003CFE6
	v_mov_b32_e32 v227, v64                                    // 00000002A214: 7FC60340
	s_nop 1                                                    // 00000002A218: BF800001
	v_lshrrev_b32_e32 v64, 4, v0                               // 00000002A21C: 20800084
	v_mul_i32_i24_e32 v68, 34, v64                             // 00000002A220: 0C8880A2
	v_and_b32_e32 v64, 15, v0                                  // 00000002A224: 2680008F
	v_mul_i32_i24_e32 v65, 2, v64                              // 00000002A228: 0C828082
	v_add_u32_e32 v68, v65, v68                                // 00000002A22C: 68888941
	s_mul_i32 s60, s7, 0x88                                    // 00000002A230: 923CFF07 00000088
	v_add_u32_e32 v68, s60, v68                                // 00000002A238: 6888883C
	v_lshlrev_b32_e32 v68, 2, v68                              // 00000002A23C: 24888882
	ds_write_b64 v68, v[224:225] offset:41472                  // 00000002A240: D89AA200 0000E044
	ds_write_b64 v68, v[226:227] offset:43648                  // 00000002A248: D89AAA80 0000E244
	v_lshrrev_b32_e32 v64, 1, v0                               // 00000002A250: 20800081
	v_mul_i32_i24_e32 v68, 34, v64                             // 00000002A254: 0C8880A2
	v_and_b32_e32 v65, 1, v0                                   // 00000002A258: 26820081
	v_add_u32_e32 v68, v65, v68                                // 00000002A25C: 68888941
	s_mul_i32 s60, s7, 2                                       // 00000002A260: 923C8207
	v_add_u32_e32 v68, s60, v68                                // 00000002A264: 6888883C
	v_lshlrev_b32_e32 v68, 2, v68                              // 00000002A268: 24888882
	s_waitcnt lgkmcnt(0)                                       // 00000002A26C: BF8CC07F
	s_barrier                                                  // 00000002A270: BF8A0000
	ds_read_b32 v224, v68 offset:41472                         // 00000002A274: D86CA200 E0000044
	ds_read_b32 v225, v68 offset:41504                         // 00000002A27C: D86CA220 E1000044
	ds_read_b32 v226, v68 offset:41536                         // 00000002A284: D86CA240 E2000044
	ds_read_b32 v227, v68 offset:41568                         // 00000002A28C: D86CA260 E3000044
	s_mul_i32 s60, s7, 0x100                                   // 00000002A294: 923CFF07 00000100
	v_lshlrev_b32_e32 v64, 2, v0                               // 00000002A29C: 24800082
	v_add_u32_e64 v64, v64, s60                                // 00000002A2A0: D1340040 00007940
	s_waitcnt lgkmcnt(0)                                       // 00000002A2A8: BF8CC07F
	buffer_store_dword v224, v64, s[8:11], 0 offen             // 00000002A2AC: E0701000 8002E040
	buffer_store_dword v225, v64, s[8:11], 0 offen offset:1024 // 00000002A2B4: E0701400 8002E140
	buffer_store_dword v226, v64, s[8:11], 0 offen offset:2048 // 00000002A2BC: E0701800 8002E240
	buffer_store_dword v227, v64, s[8:11], 0 offen offset:3072 // 00000002A2C4: E0701C00 8002E340
	s_add_u32 s8, s75, s8                                      // 00000002A2CC: 8008084B
	s_addc_u32 s9, 0, s9                                       // 00000002A2D0: 82090980
	v_mul_f32_e32 v232, v52, v232                              // 00000002A2D4: 0BD1D134
	v_mul_f32_e32 v233, v52, v233                              // 00000002A2D8: 0BD3D334
	v_mul_f32_e32 v234, v52, v234                              // 00000002A2DC: 0BD5D534
	v_mul_f32_e32 v235, v52, v235                              // 00000002A2E0: 0BD7D734
	v_mul_f32_e32 v236, v52, v236                              // 00000002A2E4: 0BD9D934
	v_mul_f32_e32 v237, v52, v237                              // 00000002A2E8: 0BDBDB34
	v_mul_f32_e32 v238, v52, v238                              // 00000002A2EC: 0BDDDD34
	v_mul_f32_e32 v239, v52, v239                              // 00000002A2F0: 0BDFDF34
	v_cvt_f32_i32_e32 v200, v200                               // 00000002A2F4: 7F900BC8
	v_cvt_f32_i32_e32 v201, v201                               // 00000002A2F8: 7F920BC9
	v_cvt_f32_i32_e32 v202, v202                               // 00000002A2FC: 7F940BCA
	v_cvt_f32_i32_e32 v203, v203                               // 00000002A300: 7F960BCB
	v_cvt_f32_i32_e32 v204, v204                               // 00000002A304: 7F980BCC
	v_cvt_f32_i32_e32 v205, v205                               // 00000002A308: 7F9A0BCD
	v_cvt_f32_i32_e32 v206, v206                               // 00000002A30C: 7F9C0BCE
	v_cvt_f32_i32_e32 v207, v207                               // 00000002A310: 7F9E0BCF
	v_mul_f32_e32 v200, v47, v200                              // 00000002A314: 0B91912F
	v_mul_f32_e32 v201, v47, v201                              // 00000002A318: 0B93932F
	v_mul_f32_e32 v202, v47, v202                              // 00000002A31C: 0B95952F
	v_mul_f32_e32 v203, v47, v203                              // 00000002A320: 0B97972F
	v_mul_f32_e32 v204, v47, v204                              // 00000002A324: 0B99992F
	v_mul_f32_e32 v205, v47, v205                              // 00000002A328: 0B9B9B2F
	v_mul_f32_e32 v206, v47, v206                              // 00000002A32C: 0B9D9D2F
	v_mul_f32_e32 v207, v47, v207                              // 00000002A330: 0B9F9F2F
	v_add_f32_e32 v232, v232, v200                             // 00000002A334: 03D191E8
	v_add_f32_e32 v233, v233, v201                             // 00000002A338: 03D393E9
	v_add_f32_e32 v234, v234, v202                             // 00000002A33C: 03D595EA
	v_add_f32_e32 v235, v235, v203                             // 00000002A340: 03D797EB
	v_add_f32_e32 v236, v236, v204                             // 00000002A344: 03D999EC
	v_add_f32_e32 v237, v237, v205                             // 00000002A348: 03DB9BED
	v_add_f32_e32 v238, v238, v206                             // 00000002A34C: 03DD9DEE
	v_add_f32_e32 v239, v239, v207                             // 00000002A350: 03DF9FEF
	ds_write_b32 v8, v41 offset:16896                          // 00000002A354: D81A4200 00002908
	s_waitcnt lgkmcnt(0)                                       // 00000002A35C: BF8CC07F
	s_barrier                                                  // 00000002A360: BF8A0000
	ds_read_b32 v64, v7 offset:16896                           // 00000002A364: D86C4200 40000007
	ds_read_b32 v65, v7 offset:16960                           // 00000002A36C: D86C4240 41000007
	ds_read_b32 v66, v7 offset:17024                           // 00000002A374: D86C4280 42000007
	ds_read_b32 v67, v7 offset:17088                           // 00000002A37C: D86C42C0 43000007
	ds_read_b32 v68, v7 offset:17152                           // 00000002A384: D86C4300 44000007
	ds_read_b32 v69, v7 offset:17216                           // 00000002A38C: D86C4340 45000007
	ds_read_b32 v70, v7 offset:17280                           // 00000002A394: D86C4380 46000007
	ds_read_b32 v71, v7 offset:17344                           // 00000002A39C: D86C43C0 47000007
	ds_read_b32 v72, v7 offset:17408                           // 00000002A3A4: D86C4400 48000007
	ds_read_b32 v73, v7 offset:17472                           // 00000002A3AC: D86C4440 49000007
	ds_read_b32 v74, v7 offset:17536                           // 00000002A3B4: D86C4480 4A000007
	ds_read_b32 v75, v7 offset:17600                           // 00000002A3BC: D86C44C0 4B000007
	ds_read_b32 v76, v7 offset:17664                           // 00000002A3C4: D86C4500 4C000007
	ds_read_b32 v77, v7 offset:17728                           // 00000002A3CC: D86C4540 4D000007
	ds_read_b32 v78, v7 offset:17792                           // 00000002A3D4: D86C4580 4E000007
	ds_read_b32 v79, v7 offset:17856                           // 00000002A3DC: D86C45C0 4F000007
	s_waitcnt lgkmcnt(0)                                       // 00000002A3E4: BF8CC07F
	v_mov_b32_e32 v41, 0                                       // 00000002A3E8: 7E520280
	v_add_f32_e32 v41, v64, v41                                // 00000002A3EC: 02525340
	v_add_f32_e32 v41, v65, v41                                // 00000002A3F0: 02525341
	v_add_f32_e32 v41, v66, v41                                // 00000002A3F4: 02525342
	v_add_f32_e32 v41, v67, v41                                // 00000002A3F8: 02525343
	v_add_f32_e32 v41, v68, v41                                // 00000002A3FC: 02525344
	v_add_f32_e32 v41, v69, v41                                // 00000002A400: 02525345
	v_add_f32_e32 v41, v70, v41                                // 00000002A404: 02525346
	v_add_f32_e32 v41, v71, v41                                // 00000002A408: 02525347
	v_add_f32_e32 v41, v72, v41                                // 00000002A40C: 02525348
	v_add_f32_e32 v41, v73, v41                                // 00000002A410: 02525349
	v_add_f32_e32 v41, v74, v41                                // 00000002A414: 0252534A
	v_add_f32_e32 v41, v75, v41                                // 00000002A418: 0252534B
	v_add_f32_e32 v41, v76, v41                                // 00000002A41C: 0252534C
	v_add_f32_e32 v41, v77, v41                                // 00000002A420: 0252534D
	v_add_f32_e32 v41, v78, v41                                // 00000002A424: 0252534E
	v_add_f32_e32 v41, v79, v41                                // 00000002A428: 0252534F
	s_nop 1                                                    // 00000002A42C: BF800001
	v_rcp_f32_e32 v41, v41                                     // 00000002A430: 7E524529
	s_nop 1                                                    // 00000002A434: BF800001
	v_mul_f32_e32 v232, v41, v232                              // 00000002A438: 0BD1D129
	v_mul_f32_e32 v233, v41, v233                              // 00000002A43C: 0BD3D329
	v_mul_f32_e32 v234, v41, v234                              // 00000002A440: 0BD5D529
	v_mul_f32_e32 v235, v41, v235                              // 00000002A444: 0BD7D729
	v_mul_f32_e32 v236, v41, v236                              // 00000002A448: 0BD9D929
	v_mul_f32_e32 v237, v41, v237                              // 00000002A44C: 0BDBDB29
	v_mul_f32_e32 v238, v41, v238                              // 00000002A450: 0BDDDD29
	v_mul_f32_e32 v239, v41, v239                              // 00000002A454: 0BDFDF29
	v_mov_b32_e32 v19, 0xffff0000                              // 00000002A458: 7E2602FF FFFF0000
	v_mov_b32_e32 v20, 0x7fff0000                              // 00000002A460: 7E2802FF 7FFF0000
	v_mov_b32_e32 v21, 0x7fff                                  // 00000002A468: 7E2A02FF 00007FFF
	v_cvt_pkrtz_f16_f32 v64, v232, v233                        // 00000002A470: D2960040 0003D3E8
	v_mov_b32_e32 v232, v64                                    // 00000002A478: 7FD00340
	v_cvt_pkrtz_f16_f32 v64, v234, v235                        // 00000002A47C: D2960040 0003D7EA
	v_mov_b32_e32 v233, v64                                    // 00000002A484: 7FD20340
	v_cvt_pkrtz_f16_f32 v64, v236, v237                        // 00000002A488: D2960040 0003DBEC
	v_mov_b32_e32 v234, v64                                    // 00000002A490: 7FD40340
	v_cvt_pkrtz_f16_f32 v64, v238, v239                        // 00000002A494: D2960040 0003DFEE
	v_mov_b32_e32 v235, v64                                    // 00000002A49C: 7FD60340
	s_nop 1                                                    // 00000002A4A0: BF800001
	v_lshrrev_b32_e32 v64, 4, v0                               // 00000002A4A4: 20800084
	v_mul_i32_i24_e32 v68, 34, v64                             // 00000002A4A8: 0C8880A2
	v_and_b32_e32 v64, 15, v0                                  // 00000002A4AC: 2680008F
	v_mul_i32_i24_e32 v65, 2, v64                              // 00000002A4B0: 0C828082
	v_add_u32_e32 v68, v65, v68                                // 00000002A4B4: 68888941
	s_mul_i32 s60, s7, 0x88                                    // 00000002A4B8: 923CFF07 00000088
	v_add_u32_e32 v68, s60, v68                                // 00000002A4C0: 6888883C
	v_lshlrev_b32_e32 v68, 2, v68                              // 00000002A4C4: 24888882
	ds_write_b64 v68, v[232:233] offset:41472                  // 00000002A4C8: D89AA200 0000E844
	ds_write_b64 v68, v[234:235] offset:43648                  // 00000002A4D0: D89AAA80 0000EA44
	v_lshrrev_b32_e32 v64, 1, v0                               // 00000002A4D8: 20800081
	v_mul_i32_i24_e32 v68, 34, v64                             // 00000002A4DC: 0C8880A2
	v_and_b32_e32 v65, 1, v0                                   // 00000002A4E0: 26820081
	v_add_u32_e32 v68, v65, v68                                // 00000002A4E4: 68888941
	s_mul_i32 s60, s7, 2                                       // 00000002A4E8: 923C8207
	v_add_u32_e32 v68, s60, v68                                // 00000002A4EC: 6888883C
	v_lshlrev_b32_e32 v68, 2, v68                              // 00000002A4F0: 24888882
	s_waitcnt lgkmcnt(0)                                       // 00000002A4F4: BF8CC07F
	s_barrier                                                  // 00000002A4F8: BF8A0000
	ds_read_b32 v232, v68 offset:41472                         // 00000002A4FC: D86CA200 E8000044
	ds_read_b32 v233, v68 offset:41504                         // 00000002A504: D86CA220 E9000044
	ds_read_b32 v234, v68 offset:41536                         // 00000002A50C: D86CA240 EA000044
	ds_read_b32 v235, v68 offset:41568                         // 00000002A514: D86CA260 EB000044
	s_mul_i32 s60, s7, 0x100                                   // 00000002A51C: 923CFF07 00000100
	v_lshlrev_b32_e32 v64, 2, v0                               // 00000002A524: 24800082
	v_add_u32_e64 v64, v64, s60                                // 00000002A528: D1340040 00007940
	s_waitcnt lgkmcnt(0)                                       // 00000002A530: BF8CC07F
	buffer_store_dword v232, v64, s[8:11], 0 offen             // 00000002A534: E0701000 8002E840
	buffer_store_dword v233, v64, s[8:11], 0 offen offset:1024 // 00000002A53C: E0701400 8002E940
	buffer_store_dword v234, v64, s[8:11], 0 offen offset:2048 // 00000002A544: E0701800 8002EA40
	buffer_store_dword v235, v64, s[8:11], 0 offen offset:3072 // 00000002A54C: E0701C00 8002EB40
	s_add_u32 s8, s75, s8                                      // 00000002A554: 8008084B
	s_addc_u32 s9, 0, s9                                       // 00000002A558: 82090980
	s_branch label_A0D8                                        // 00000002A55C: BF820000

000000000002a560 <label_A0D8>:
	s_waitcnt vmcnt(0) expcnt(0) lgkmcnt(0)                    // 00000002A560: BF8C0000
	s_endpgm                                                   // 00000002A564: BF810000
